;; amdgpu-corpus repo=ROCm/rocFFT kind=compiled arch=gfx1201 opt=O3
	.text
	.amdgcn_target "amdgcn-amd-amdhsa--gfx1201"
	.amdhsa_code_object_version 6
	.protected	bluestein_single_fwd_len208_dim1_half_op_CI_CI ; -- Begin function bluestein_single_fwd_len208_dim1_half_op_CI_CI
	.globl	bluestein_single_fwd_len208_dim1_half_op_CI_CI
	.p2align	8
	.type	bluestein_single_fwd_len208_dim1_half_op_CI_CI,@function
bluestein_single_fwd_len208_dim1_half_op_CI_CI: ; @bluestein_single_fwd_len208_dim1_half_op_CI_CI
; %bb.0:
	s_load_b128 s[16:19], s[0:1], 0x28
	v_lshrrev_b32_e32 v1, 4, v0
	v_mov_b32_e32 v16, 0
	s_mov_b32 s2, exec_lo
	s_delay_alu instid0(VALU_DEP_2) | instskip(SKIP_1) | instid1(VALU_DEP_1)
	v_lshl_or_b32 v15, ttmp9, 2, v1
	s_wait_kmcnt 0x0
	v_cmpx_gt_u64_e64 s[16:17], v[15:16]
	s_cbranch_execz .LBB0_10
; %bb.1:
	s_clause 0x1
	s_load_b128 s[4:7], s[0:1], 0x18
	s_load_b128 s[8:11], s[0:1], 0x0
	v_and_b32_e32 v52, 15, v0
	v_mul_u32_u24_e32 v12, 0xd0, v1
	s_wait_kmcnt 0x0
	s_load_b128 s[12:15], s[4:5], 0x0
	s_wait_kmcnt 0x0
	v_mad_co_u64_u32 v[2:3], null, s14, v15, 0
	v_mad_co_u64_u32 v[4:5], null, s12, v52, 0
	s_lshl_b64 s[2:3], s[12:13], 6
	s_delay_alu instid0(VALU_DEP_1)
	v_dual_mov_b32 v0, v3 :: v_dual_mov_b32 v3, v5
	v_lshlrev_b32_e32 v61, 2, v52
	s_clause 0x7
	global_load_b32 v56, v61, s[8:9]
	global_load_b32 v55, v61, s[8:9] offset:64
	global_load_b32 v54, v61, s[8:9] offset:128
	;; [unrolled: 1-line block ×7, first 2 shown]
	v_mad_co_u64_u32 v[5:6], null, s15, v15, v[0:1]
	v_mad_co_u64_u32 v[6:7], null, s13, v52, v[3:4]
	v_or_b32_e32 v1, v12, v52
	v_lshl_or_b32 v37, v12, 2, v61
	s_delay_alu instid0(VALU_DEP_2) | instskip(NEXT) | instid1(VALU_DEP_4)
	v_dual_mov_b32 v3, v5 :: v_dual_lshlrev_b32 v60, 2, v1
	v_mov_b32_e32 v5, v6
	s_delay_alu instid0(VALU_DEP_2) | instskip(NEXT) | instid1(VALU_DEP_2)
	v_lshlrev_b64_e32 v[2:3], 2, v[2:3]
	v_lshlrev_b64_e32 v[4:5], 2, v[4:5]
	s_delay_alu instid0(VALU_DEP_2) | instskip(NEXT) | instid1(VALU_DEP_3)
	v_add_co_u32 v0, vcc_lo, s18, v2
	v_add_co_ci_u32_e32 v3, vcc_lo, s19, v3, vcc_lo
	s_delay_alu instid0(VALU_DEP_2) | instskip(SKIP_1) | instid1(VALU_DEP_2)
	v_add_co_u32 v2, vcc_lo, v0, v4
	s_wait_alu 0xfffd
	v_add_co_ci_u32_e32 v3, vcc_lo, v3, v5, vcc_lo
	global_load_b32 v0, v[2:3], off
	v_add_co_u32 v2, vcc_lo, v2, s2
	s_wait_alu 0xfffd
	v_add_co_ci_u32_e32 v3, vcc_lo, s3, v3, vcc_lo
	s_clause 0x4
	global_load_b32 v41, v61, s[8:9] offset:512
	global_load_b32 v39, v61, s[8:9] offset:576
	global_load_b32 v36, v61, s[8:9] offset:640
	global_load_b32 v34, v61, s[8:9] offset:704
	global_load_b32 v32, v61, s[8:9] offset:768
	v_add_co_u32 v4, vcc_lo, v2, s2
	s_wait_alu 0xfffd
	v_add_co_ci_u32_e32 v5, vcc_lo, s3, v3, vcc_lo
	global_load_b32 v6, v[2:3], off
	v_add_co_u32 v2, vcc_lo, v4, s2
	s_wait_alu 0xfffd
	v_add_co_ci_u32_e32 v3, vcc_lo, s3, v5, vcc_lo
	s_clause 0x1
	global_load_b32 v7, v[4:5], off
	global_load_b32 v8, v[2:3], off
	v_add_co_u32 v2, vcc_lo, v2, s2
	s_wait_alu 0xfffd
	v_add_co_ci_u32_e32 v3, vcc_lo, s3, v3, vcc_lo
	s_delay_alu instid0(VALU_DEP_2) | instskip(SKIP_1) | instid1(VALU_DEP_2)
	v_add_co_u32 v4, vcc_lo, v2, s2
	s_wait_alu 0xfffd
	v_add_co_ci_u32_e32 v5, vcc_lo, s3, v3, vcc_lo
	global_load_b32 v9, v[2:3], off
	v_add_co_u32 v2, vcc_lo, v4, s2
	s_wait_alu 0xfffd
	v_add_co_ci_u32_e32 v3, vcc_lo, s3, v5, vcc_lo
	global_load_b32 v10, v[4:5], off
	global_load_b32 v11, v[2:3], off
	v_add_co_u32 v2, vcc_lo, v2, s2
	s_wait_alu 0xfffd
	v_add_co_ci_u32_e32 v3, vcc_lo, s3, v3, vcc_lo
	s_delay_alu instid0(VALU_DEP_2) | instskip(SKIP_1) | instid1(VALU_DEP_2)
	v_add_co_u32 v4, vcc_lo, v2, s2
	s_wait_alu 0xfffd
	v_add_co_ci_u32_e32 v5, vcc_lo, s3, v3, vcc_lo
	global_load_b32 v13, v[2:3], off
	v_add_co_u32 v2, vcc_lo, v4, s2
	s_wait_alu 0xfffd
	v_add_co_ci_u32_e32 v3, vcc_lo, s3, v5, vcc_lo
	global_load_b32 v14, v[4:5], off
	;; [unrolled: 4-line block ×5, first 2 shown]
	global_load_b32 v3, v[4:5], off
	s_load_b128 s[4:7], s[6:7], 0x0
	s_load_b64 s[2:3], s[0:1], 0x38
	v_cmp_gt_u32_e32 vcc_lo, 13, v52
	s_wait_loadcnt 0x19
	v_lshrrev_b32_e32 v59, 16, v56
	s_wait_loadcnt 0x18
	v_lshrrev_b32_e32 v58, 16, v55
	;; [unrolled: 2-line block ×9, first 2 shown]
	v_mul_f16_e32 v4, v59, v0
	s_wait_loadcnt 0x10
	v_lshrrev_b32_e32 v42, 16, v41
	s_wait_loadcnt 0xf
	v_lshrrev_b32_e32 v40, 16, v39
	;; [unrolled: 2-line block ×3, first 2 shown]
	v_mul_f16_e32 v5, v59, v1
	v_fma_f16 v1, v56, v1, -v4
	s_wait_loadcnt 0xd
	v_lshrrev_b32_e32 v35, 16, v34
	s_wait_loadcnt 0xc
	v_lshrrev_b32_e32 v33, 16, v32
	;; [unrolled: 2-line block ×3, first 2 shown]
	v_mul_f16_e32 v4, v58, v6
	v_fmac_f16_e32 v5, v56, v0
	s_delay_alu instid0(VALU_DEP_3)
	v_mul_f16_e32 v0, v58, v18
	s_wait_loadcnt 0xa
	v_lshrrev_b32_e32 v19, 16, v7
	v_mul_f16_e32 v20, v57, v7
	v_fma_f16 v4, v55, v18, -v4
	v_pack_b32_f16 v1, v5, v1
	v_fmac_f16_e32 v0, v55, v6
	v_mul_f16_e32 v5, v57, v19
	s_wait_loadcnt 0x9
	v_lshrrev_b32_e32 v18, 16, v8
	v_fma_f16 v6, v54, v19, -v20
	v_mul_f16_e32 v19, v53, v8
	ds_store_b32 v60, v1
	v_pack_b32_f16 v0, v0, v4
	v_fmac_f16_e32 v5, v54, v7
	v_mul_f16_e32 v1, v53, v18
	s_wait_loadcnt 0x8
	v_lshrrev_b32_e32 v4, 16, v9
	v_mul_f16_e32 v7, v51, v9
	v_fma_f16 v18, v50, v18, -v19
	v_pack_b32_f16 v5, v5, v6
	v_fmac_f16_e32 v1, v50, v8
	v_mul_f16_e32 v6, v51, v4
	v_fma_f16 v4, v49, v4, -v7
	s_wait_loadcnt 0x7
	v_lshrrev_b32_e32 v7, 16, v10
	v_mul_f16_e32 v8, v48, v10
	ds_store_2addr_b32 v37, v0, v5 offset0:16 offset1:32
	v_pack_b32_f16 v0, v1, v18
	v_fmac_f16_e32 v6, v49, v9
	v_mul_f16_e32 v1, v48, v7
	s_wait_loadcnt 0x6
	v_lshrrev_b32_e32 v5, 16, v11
	v_fma_f16 v7, v47, v7, -v8
	v_mul_f16_e32 v8, v46, v11
	v_pack_b32_f16 v4, v6, v4
	v_fmac_f16_e32 v1, v47, v10
	v_mul_f16_e32 v6, v46, v5
	s_wait_loadcnt 0x5
	v_lshrrev_b32_e32 v9, 16, v13
	v_mul_f16_e32 v10, v44, v13
	v_fma_f16 v5, v45, v5, -v8
	v_pack_b32_f16 v1, v1, v7
	v_fmac_f16_e32 v6, v45, v11
	v_mul_f16_e32 v7, v44, v9
	v_fma_f16 v8, v43, v9, -v10
	s_wait_loadcnt 0x4
	v_lshrrev_b32_e32 v9, 16, v14
	v_mul_f16_e32 v10, v42, v14
	v_pack_b32_f16 v5, v6, v5
	v_fmac_f16_e32 v7, v43, v13
	s_wait_loadcnt 0x3
	v_lshrrev_b32_e32 v6, 16, v16
	v_mul_f16_e32 v11, v42, v9
	v_fma_f16 v9, v41, v9, -v10
	v_mul_f16_e32 v10, v40, v16
	v_pack_b32_f16 v7, v7, v8
	v_mul_f16_e32 v8, v40, v6
	s_wait_loadcnt 0x2
	v_lshrrev_b32_e32 v13, 16, v17
	v_fmac_f16_e32 v11, v41, v14
	v_fma_f16 v6, v39, v6, -v10
	v_mul_f16_e32 v10, v38, v17
	s_wait_loadcnt 0x1
	v_lshrrev_b32_e32 v14, 16, v2
	s_wait_loadcnt 0x0
	v_lshrrev_b32_e32 v18, 16, v3
	v_fmac_f16_e32 v8, v39, v16
	v_mul_f16_e32 v16, v38, v13
	v_fma_f16 v10, v36, v13, -v10
	v_mul_f16_e32 v13, v35, v2
	v_mul_f16_e32 v19, v35, v14
	;; [unrolled: 1-line block ×4, first 2 shown]
	v_fmac_f16_e32 v16, v36, v17
	v_fma_f16 v13, v34, v14, -v13
	v_fmac_f16_e32 v19, v34, v2
	v_fma_f16 v2, v32, v18, -v20
	v_fmac_f16_e32 v21, v32, v3
	v_pack_b32_f16 v3, v11, v9
	v_pack_b32_f16 v6, v8, v6
	;; [unrolled: 1-line block ×5, first 2 shown]
	ds_store_2addr_b32 v37, v0, v4 offset0:48 offset1:64
	ds_store_2addr_b32 v37, v1, v5 offset0:80 offset1:96
	;; [unrolled: 1-line block ×5, first 2 shown]
	global_wb scope:SCOPE_SE
	s_wait_dscnt 0x0
	s_wait_kmcnt 0x0
	s_barrier_signal -1
	s_barrier_wait -1
	global_inv scope:SCOPE_SE
	ds_load_b32 v13, v60
	ds_load_2addr_b32 v[10:11], v37 offset0:16 offset1:32
	ds_load_2addr_b32 v[0:1], v37 offset0:176 offset1:192
	;; [unrolled: 1-line block ×6, first 2 shown]
	v_add_co_u32 v18, s0, s8, v61
	s_wait_alu 0xf1ff
	v_add_co_ci_u32_e64 v19, null, s9, 0, s0
	global_wb scope:SCOPE_SE
	s_wait_dscnt 0x0
	s_barrier_signal -1
	s_barrier_wait -1
	global_inv scope:SCOPE_SE
	v_lshrrev_b32_e32 v23, 16, v13
	v_pk_add_f16 v14, v13, v10
	v_pk_add_f16 v16, v1, v10
	v_pk_add_f16 v10, v10, v1 neg_lo:[0,1] neg_hi:[0,1]
	v_pk_add_f16 v27, v0, v11
	v_pk_add_f16 v17, v11, v0 neg_lo:[0,1] neg_hi:[0,1]
	;; [unrolled: 2-line block ×5, first 2 shown]
	v_pk_add_f16 v63, v7, v4 neg_lo:[0,1] neg_hi:[0,1]
	v_pk_add_f16 v11, v14, v11
	v_lshrrev_b32_e32 v14, 16, v27
	v_mul_f16_e32 v26, 0xba95, v17
	v_mul_f16_e32 v29, 0xbb7b, v17
	v_mul_f16_e32 v64, 0xb3a8, v17
	v_mul_f16_e32 v65, 0x394e, v17
	v_mul_f16_e32 v66, 0x3bf1, v17
	v_lshrrev_b32_e32 v67, 16, v28
	v_mul_f16_e32 v68, 0xbbf1, v20
	v_mul_f16_e32 v69, 0xb3a8, v20
	v_mul_f16_e32 v70, 0x3b7b, v20
	v_mul_f16_e32 v71, 0x3770, v20
	v_mul_f16_e32 v72, 0xba95, v20
	;; [unrolled: 6-line block ×5, first 2 shown]
	v_lshrrev_b32_e32 v91, 16, v10
	v_pk_mul_f16 v10, 0xb3a8, v10 op_sel_hi:[0,1]
	v_pk_mul_f16 v92, 0x3770, v17 op_sel_hi:[0,1]
	v_lshrrev_b32_e32 v17, 16, v17
	v_lshrrev_b32_e32 v95, 16, v22
	v_pk_mul_f16 v96, 0xbb7b, v22 op_sel_hi:[0,1]
	v_lshrrev_b32_e32 v22, 16, v63
	v_pk_add_f16 v8, v11, v8
	v_fmamk_f16 v11, v14, 0x388b, v26
	v_fma_f16 v26, v14, 0x388b, -v26
	v_fmamk_f16 v104, v14, 0xb5ac, v29
	v_fma_f16 v29, v14, 0xb5ac, -v29
	;; [unrolled: 2-line block ×24, first 2 shown]
	v_fma_f16 v123, v85, 0x3b15, -v90
	v_mul_f16_e32 v85, 0x3b15, v85
	v_mul_f16_e32 v124, 0xb770, v91
	v_pk_fma_f16 v125, 0xbbc4, v16, v10 op_sel:[0,0,1] op_sel_hi:[0,1,0] neg_lo:[0,0,1] neg_hi:[0,0,1]
	v_mul_f16_e64 v128, 0xba95, v91
	v_mul_f16_e64 v130, 0xbbf1, v91
	;; [unrolled: 1-line block ×3, first 2 shown]
	v_mul_f16_e32 v91, 0xb94e, v91
	v_pk_add_f16 v62, v4, v7
	v_alignbit_b32 v24, s0, v7, 16
	v_pk_mul_f16 v93, 0xb94e, v20 op_sel_hi:[0,1]
	v_lshrrev_b32_e32 v20, 16, v20
	v_pk_fma_f16 v126, 0x3b15, v27, v92 op_sel:[0,0,1] op_sel_hi:[0,1,0] neg_lo:[0,0,1] neg_hi:[0,0,1]
	v_mul_f16_e32 v127, 0xba95, v17
	v_mul_f16_e64 v129, 0xbb7b, v17
	v_mul_f16_e64 v131, 0xb3a8, v17
	;; [unrolled: 1-line block ×3, first 2 shown]
	v_mul_f16_e32 v17, 0x3bf1, v17
	v_mul_f16_e64 v146, 0xb3a8, v22
	v_mul_f16_e64 v147, 0x3770, v22
	;; [unrolled: 1-line block ×5, first 2 shown]
	v_pk_add_f16 v8, v8, v9
	v_add_f16_e32 v9, v23, v123
	v_add_f16_e32 v22, v23, v84
	;; [unrolled: 1-line block ×9, first 2 shown]
	v_perm_b32 v85, v7, v85, 0x5040100
	v_alignbit_b32 v7, v124, v7, 16
	v_pk_add_f16 v89, v13, v125
	v_fmamk_f16 v122, v16, 0x3b15, v124
	v_fma_f16 v124, v16, 0x388b, -v128
	v_fma_f16 v158, v16, 0x2fb7, -v130
	;; [unrolled: 1-line block ×4, first 2 shown]
	v_fmac_f16_e32 v91, 0xb9fd, v16
	v_pk_mul_f16 v94, 0x3a95, v21 op_sel_hi:[0,1]
	v_lshrrev_b32_e32 v21, 16, v21
	v_mul_f16_e32 v100, 0x3b15, v16
	v_mul_f16_e64 v135, 0xbbf1, v20
	v_mul_f16_e64 v136, 0xb3a8, v20
	;; [unrolled: 1-line block ×4, first 2 shown]
	v_mul_f16_e32 v20, 0xba95, v20
	v_fma_f16 v125, v27, 0xb5ac, -v129
	v_fma_f16 v159, v27, 0xbbc4, -v131
	;; [unrolled: 1-line block ×4, first 2 shown]
	v_pk_add_f16 v6, v8, v6
	v_add_f16_e32 v8, v26, v9
	v_add_f16_e32 v9, v104, v22
	;; [unrolled: 1-line block ×7, first 2 shown]
	v_pk_add_f16 v23, v126, v89
	v_add_f16_e32 v87, v13, v124
	v_add_f16_e64 v89, v13, v158
	v_add_f16_e64 v105, v13, v160
	;; [unrolled: 1-line block ×3, first 2 shown]
	v_pk_fma_f16 v134, 0xb9fd, v28, v93 op_sel:[0,0,1] op_sel_hi:[0,1,0] neg_lo:[0,0,1] neg_hi:[0,0,1]
	v_fmac_f16_e32 v17, 0x2fb7, v27
	v_add_f16_e32 v64, v106, v120
	v_add_f16_e32 v65, v65, v88
	;; [unrolled: 1-line block ×3, first 2 shown]
	v_mul_f16_e64 v140, 0xbb7b, v21
	v_mul_f16_e64 v141, 0x394e, v21
	;; [unrolled: 1-line block ×4, first 2 shown]
	v_mul_f16_e32 v21, 0x33a8, v21
	v_lshlrev_b32_e32 v100, 16, v100
	v_fma_f16 v165, v28, 0xbbc4, -v136
	v_fma_f16 v166, v28, 0xb5ac, -v137
	;; [unrolled: 1-line block ×4, first 2 shown]
	v_add_f16_e32 v87, v125, v87
	v_add_f16_e64 v89, v159, v89
	v_add_f16_e64 v105, v161, v105
	;; [unrolled: 1-line block ×3, first 2 shown]
	v_add_f16_e32 v9, v108, v9
	v_add_f16_e32 v14, v67, v14
	v_pack_b32_f16 v67, v90, v6
	v_alignbit_b32 v6, s0, v6, 16
	v_pk_fma_f16 v139, 0x388b, v30, v94 op_sel:[0,0,1] op_sel_hi:[0,1,0] neg_lo:[0,0,1] neg_hi:[0,0,1]
	v_fmac_f16_e32 v20, 0x388b, v28
	v_add_f16_e32 v17, v17, v91
	v_add_f16_e32 v8, v68, v8
	;; [unrolled: 1-line block ×8, first 2 shown]
	v_pk_add_f16 v23, v134, v23
	v_lshrrev_b32_e32 v97, 16, v62
	v_mul_f16_e32 v99, 0x3770, v63
	v_mul_f16_e64 v144, 0xb94e, v95
	v_mul_f16_e64 v145, 0x3bf1, v95
	;; [unrolled: 1-line block ×4, first 2 shown]
	v_mul_f16_e32 v95, 0x3770, v95
	v_fma_f16 v170, v30, 0xb9fd, -v141
	v_fma_f16 v171, v30, 0x3b15, -v142
	;; [unrolled: 1-line block ×4, first 2 shown]
	v_add_f16_e64 v70, v165, v87
	v_add_f16_e64 v84, v166, v89
	;; [unrolled: 1-line block ×4, first 2 shown]
	v_add_f16_e32 v9, v112, v9
	v_pk_add_f16 v6, v6, v24
	v_pk_add_f16 v7, v100, v7 neg_lo:[0,1] neg_hi:[0,1]
	v_alignbit_b32 v25, v4, v13, 16
	v_pk_fma_f16 v149, 0xb5ac, v31, v96 op_sel:[0,0,1] op_sel_hi:[0,1,0] neg_lo:[0,0,1] neg_hi:[0,0,1]
	v_fmac_f16_e32 v21, 0xbbc4, v30
	v_add_f16_e32 v17, v20, v17
	v_add_f16_e32 v20, v75, v22
	;; [unrolled: 1-line block ×7, first 2 shown]
	v_pk_add_f16 v23, v139, v23
	v_pk_add_f16 v67, v67, v85
	v_mul_f16_e32 v102, 0x3a95, v63
	v_fma_f16 v152, 0x3b15, v97, v99
	v_fma_f16 v123, v27, 0x388b, -v127
	v_fma_f16 v175, v31, 0x2fb7, -v145
	;; [unrolled: 1-line block ×5, first 2 shown]
	v_add_f16_e32 v14, v73, v14
	v_add_f16_e64 v68, v170, v70
	v_add_f16_e64 v70, v171, v84
	;; [unrolled: 1-line block ×4, first 2 shown]
	v_add_f16_e32 v9, v116, v9
	v_bfi_b32 v6, 0xffff, v6, v7
	v_alignbit_b32 v4, v13, v4, 16
	v_perm_b32 v11, v5, v11, 0x5040100
	v_add_f16_e32 v17, v21, v17
	v_add_f16_e32 v21, v117, v22
	;; [unrolled: 1-line block ×6, first 2 shown]
	v_pk_add_f16 v65, v149, v23
	v_pk_add_f16 v23, v25, v67
	v_fma_f16 v156, 0x388b, v97, v102
	v_fma_f16 v164, v28, 0x2fb7, -v135
	v_add_f16_e64 v67, v175, v68
	v_add_f16_e64 v68, v178, v70
	;; [unrolled: 1-line block ×5, first 2 shown]
	v_fma_f16 v9, v62, 0xb5ac, -v157
	v_pk_add_f16 v4, v6, v4
	v_alignbit_b32 v5, v123, v5, 16
	v_pk_mul_f16 v6, 0x3bf1, v63 op_sel_hi:[0,1]
	v_pk_fma_f16 v7, 0xbbc4, v16, v10 op_sel:[0,0,1] op_sel_hi:[0,1,0]
	v_mul_f16_e32 v98, 0xb3a8, v63
	v_fmac_f16_e64 v128, 0x388b, v16
	v_fmac_f16_e64 v130, 0x2fb7, v16
	;; [unrolled: 1-line block ×3, first 2 shown]
	v_perm_b32 v66, v2, v66, 0x5040100
	v_add_f16_e32 v8, v74, v8
	v_pk_add_f16 v11, v23, v11
	v_fma_f16 v169, v30, 0xb5ac, -v140
	v_add_f16_e64 v84, v156, v26
	v_add_f16_e32 v26, v9, v73
	v_pk_add_f16 v4, v4, v5
	v_alignbit_b32 v2, v164, v2, 16
	v_pk_fma_f16 v5, 0x2fb7, v62, v6 op_sel:[0,0,1] op_sel_hi:[0,1,0] neg_lo:[0,0,1] neg_hi:[0,0,1]
	v_pk_add_f16 v7, v13, v7
	v_pk_fma_f16 v9, 0x3b15, v27, v92 op_sel:[0,0,1] op_sel_hi:[0,1,0]
	v_fma_f16 v151, v97, 0xbbc4, -v98
	v_fmac_f16_e32 v127, 0x388b, v27
	v_fmac_f16_e64 v129, 0xb5ac, v27
	v_fmac_f16_e64 v131, 0xbbc4, v27
	;; [unrolled: 1-line block ×3, first 2 shown]
	v_perm_b32 v72, v3, v72, 0x5040100
	v_add_f16_e32 v86, v13, v122
	v_add_f16_e64 v88, v13, v128
	v_add_f16_e64 v104, v13, v130
	;; [unrolled: 1-line block ×3, first 2 shown]
	v_add_f16_e32 v8, v80, v8
	v_pk_add_f16 v11, v11, v66
	v_fma_f16 v174, v31, 0xb9fd, -v144
	v_pk_add_f16 v2, v4, v2
	v_alignbit_b32 v3, v169, v3, 16
	v_pk_add_f16 v27, v5, v65
	v_pk_add_f16 v4, v9, v7
	v_pk_fma_f16 v5, 0xb9fd, v28, v93 op_sel:[0,0,1] op_sel_hi:[0,1,0]
	v_fmamk_f16 v98, v97, 0xbbc4, v98
	v_fmac_f16_e64 v135, 0x2fb7, v28
	v_fmac_f16_e64 v136, 0xbbc4, v28
	v_fmac_f16_e64 v137, 0xb5ac, v28
	v_fmac_f16_e64 v138, 0x3b15, v28
	v_perm_b32 v78, v0, v78, 0x5040100
	v_add_f16_e32 v86, v127, v86
	v_add_f16_e64 v88, v129, v88
	v_add_f16_e64 v104, v131, v104
	;; [unrolled: 1-line block ×3, first 2 shown]
	v_add_f16_e32 v14, v79, v14
	v_add_f16_e64 v79, v151, v8
	v_pk_add_f16 v8, v11, v72
	v_fma_f16 v176, v62, 0xbbc4, -v146
	v_pk_add_f16 v2, v2, v3
	v_alignbit_b32 v0, v174, v0, 16
	v_pk_add_f16 v3, v5, v4
	v_pk_fma_f16 v4, 0x388b, v30, v94 op_sel:[0,0,1] op_sel_hi:[0,1,0]
	v_fmac_f16_e64 v140, 0xb5ac, v30
	v_fmac_f16_e64 v141, 0xb9fd, v30
	;; [unrolled: 1-line block ×4, first 2 shown]
	v_perm_b32 v98, v1, v98, 0x5040100
	v_add_f16_e64 v69, v135, v86
	v_add_f16_e64 v71, v136, v88
	;; [unrolled: 1-line block ×4, first 2 shown]
	v_pk_add_f16 v8, v8, v78
	v_pk_add_f16 v0, v2, v0
	v_alignbit_b32 v1, v176, v1, 16
	v_pk_add_f16 v3, v4, v3
	v_pk_fma_f16 v4, 0xb5ac, v31, v96 op_sel:[0,0,1] op_sel_hi:[0,1,0]
	v_mul_f16_e32 v101, 0xb94e, v63
	v_mul_f16_e32 v103, 0xbb7b, v63
	v_fmac_f16_e64 v144, 0xb9fd, v31
	v_fmac_f16_e64 v145, 0x2fb7, v31
	;; [unrolled: 1-line block ×4, first 2 shown]
	v_fmac_f16_e32 v95, 0x3b15, v31
	v_add_f16_e64 v24, v140, v69
	v_add_f16_e64 v69, v141, v71
	;; [unrolled: 1-line block ×4, first 2 shown]
	v_pk_add_f16 v85, v8, v98
	v_fma_f16 v8, v97, 0x388b, -v102
	v_pk_add_f16 v87, v0, v1
	v_pk_add_f16 v0, v4, v3
	v_pk_fma_f16 v1, 0x2fb7, v62, v6 op_sel:[0,0,1] op_sel_hi:[0,1,0]
	v_fma_f16 v99, v97, 0x3b15, -v99
	v_fma_f16 v153, 0xb9fd, v97, v101
	v_fma_f16 v177, v62, 0x3b15, -v147
	v_fma_f16 v181, v62, 0xb9fd, -v154
	v_add_f16_e32 v20, v81, v20
	v_fma_f16 v182, v62, 0x388b, -v155
	v_fmamk_f16 v11, v97, 0xb5ac, v103
	v_fmac_f16_e64 v146, 0xbbc4, v62
	v_fmac_f16_e64 v155, 0x388b, v62
	v_add_f16_e64 v24, v144, v24
	v_add_f16_e64 v25, v145, v69
	;; [unrolled: 1-line block ×4, first 2 shown]
	v_add_f16_e32 v74, v95, v17
	v_add_f16_e32 v86, v8, v29
	v_fmac_f16_e64 v157, 0xb5ac, v62
	v_fma_f16 v8, v97, 0xb5ac, -v103
	v_fma_f16 v101, v97, 0xb9fd, -v101
	v_fmac_f16_e64 v147, 0x3b15, v62
	v_fmac_f16_e64 v154, 0xb9fd, v62
	v_mul_u32_u24_e32 v2, 13, v52
	v_pk_add_f16 v28, v1, v0
	v_add_f16_e32 v80, v99, v20
	v_add_f16_e64 v83, v153, v21
	v_add_f16_e64 v17, v177, v67
	;; [unrolled: 1-line block ×4, first 2 shown]
	v_add_f16_e32 v88, v11, v64
	v_add_f16_e64 v23, v146, v24
	v_add_f16_e64 v24, v155, v71
	v_add_f16_e64 v29, v157, v74
	v_add_f16_e32 v89, v8, v14
	v_add_f16_e32 v81, v101, v22
	v_add_f16_e64 v22, v147, v25
	v_add_f16_e64 v25, v154, v69
	v_add_lshl_u32 v65, v12, v2, 2
	v_lshrrev_b32_e32 v78, 16, v85
	v_lshrrev_b32_e32 v16, 16, v87
	v_alignbit_b32 v2, v85, v87, 16
	v_alignbit_b32 v3, v87, v85, 16
	v_lshrrev_b32_e32 v90, 16, v27
	v_lshrrev_b32_e32 v92, 16, v28
	v_pack_b32_f16 v4, v20, v83
	v_pack_b32_f16 v0, v17, v82
	;; [unrolled: 1-line block ×4, first 2 shown]
	v_bfi_b32 v6, 0xffff, v28, v27
	v_bfi_b32 v7, 0xffff, v27, v28
	v_pack_b32_f16 v8, v24, v86
	v_pack_b32_f16 v9, v29, v89
	v_pack_b32_f16 v10, v22, v80
	v_pack_b32_f16 v11, v25, v81
	v_pack_b32_f16 v12, v23, v79
	ds_store_2addr_b32 v65, v3, v2 offset1:1
	ds_store_2addr_b32 v65, v0, v4 offset0:2 offset1:3
	ds_store_2addr_b32 v65, v5, v1 offset0:4 offset1:5
	;; [unrolled: 1-line block ×5, first 2 shown]
	ds_store_b32 v65, v12 offset:48
	global_wb scope:SCOPE_SE
	s_wait_dscnt 0x0
	s_barrier_signal -1
	s_barrier_wait -1
	global_inv scope:SCOPE_SE
                                        ; implicit-def: $vgpr91
                                        ; implicit-def: $vgpr93
                                        ; implicit-def: $vgpr31
                                        ; implicit-def: $vgpr94
                                        ; implicit-def: $vgpr95
	s_and_saveexec_b32 s0, vcc_lo
	s_cbranch_execz .LBB0_3
; %bb.2:
	ds_load_b32 v78, v60
	ds_load_2addr_b32 v[16:17], v37 offset0:13 offset1:26
	ds_load_2addr_b32 v[20:21], v37 offset0:39 offset1:52
	;; [unrolled: 1-line block ×7, first 2 shown]
	ds_load_b32 v91, v37 offset:780
	s_wait_dscnt 0x8
	v_lshrrev_b32_e32 v87, 16, v78
	s_wait_dscnt 0x7
	v_lshrrev_b32_e32 v85, 16, v16
	v_lshrrev_b32_e32 v82, 16, v17
	s_wait_dscnt 0x6
	v_lshrrev_b32_e32 v83, 16, v20
	;; [unrolled: 3-line block ×8, first 2 shown]
.LBB0_3:
	s_wait_alu 0xfffe
	s_or_b32 exec_lo, exec_lo, s0
	v_add_nc_u32_e32 v0, -13, v52
	s_delay_alu instid0(VALU_DEP_1) | instskip(NEXT) | instid1(VALU_DEP_1)
	v_cndmask_b32_e32 v0, v0, v52, vcc_lo
	v_mul_i32_i24_e32 v1, 60, v0
	v_mul_hi_i32_i24_e32 v0, 60, v0
	s_delay_alu instid0(VALU_DEP_2) | instskip(SKIP_1) | instid1(VALU_DEP_2)
	v_add_co_u32 v12, s0, s10, v1
	s_wait_alu 0xf1ff
	v_add_co_ci_u32_e64 v13, s0, s11, v0, s0
	s_clause 0x3
	global_load_b128 v[0:3], v[12:13], off
	global_load_b128 v[4:7], v[12:13], off offset:16
	global_load_b128 v[8:11], v[12:13], off offset:32
	global_load_b96 v[12:14], v[12:13], off offset:48
	s_wait_loadcnt 0x3
	v_lshrrev_b32_e32 v66, 16, v0
	v_lshrrev_b32_e32 v74, 16, v1
	v_lshrrev_b32_e32 v70, 16, v2
	v_lshrrev_b32_e32 v62, 16, v3
	s_wait_loadcnt 0x2
	v_lshrrev_b32_e32 v68, 16, v4
	v_lshrrev_b32_e32 v76, 16, v5
	v_lshrrev_b32_e32 v72, 16, v6
	v_lshrrev_b32_e32 v64, 16, v7
	;; [unrolled: 5-line block ×3, first 2 shown]
	s_wait_loadcnt 0x0
	v_lshrrev_b32_e32 v69, 16, v12
	v_lshrrev_b32_e32 v77, 16, v13
	;; [unrolled: 1-line block ×3, first 2 shown]
	v_mul_f16_e32 v96, v85, v66
	v_mul_f16_e32 v97, v16, v66
	;; [unrolled: 1-line block ×30, first 2 shown]
	v_fma_f16 v16, v16, v0, -v96
	v_fmac_f16_e32 v97, v85, v0
	v_fma_f16 v17, v17, v1, -v98
	v_fmac_f16_e32 v99, v82, v1
	;; [unrolled: 2-line block ×15, first 2 shown]
	v_sub_f16_e32 v79, v78, v27
	v_sub_f16_e32 v80, v87, v111
	;; [unrolled: 1-line block ×16, first 2 shown]
	v_fma_f16 v83, v78, 2.0, -v79
	v_fma_f16 v25, v87, 2.0, -v80
	;; [unrolled: 1-line block ×11, first 2 shown]
	v_sub_f16_e32 v82, v79, v81
	v_add_f16_e32 v23, v80, v23
	v_sub_f16_e32 v81, v86, v88
	v_add_f16_e32 v102, v90, v29
	;; [unrolled: 2-line block ×4, first 2 shown]
	v_fma_f16 v27, v99, 2.0, -v90
	v_fma_f16 v31, v20, 2.0, -v94
	;; [unrolled: 1-line block ×5, first 2 shown]
	v_sub_f16_e32 v85, v83, v21
	v_sub_f16_e32 v22, v25, v78
	v_fma_f16 v24, v79, 2.0, -v82
	v_fma_f16 v21, v80, 2.0, -v23
	v_sub_f16_e32 v100, v84, v17
	v_fma_f16 v17, v86, 2.0, -v81
	v_fma_f16 v78, v90, 2.0, -v102
	v_sub_f16_e32 v90, v28, v16
	v_sub_f16_e32 v86, v87, v26
	v_fma_f16 v30, v91, 2.0, -v88
	v_fma_f16 v26, v92, 2.0, -v29
	;; [unrolled: 1-line block ×4, first 2 shown]
	v_sub_f16_e32 v95, v27, v95
	v_sub_f16_e32 v97, v31, v20
	;; [unrolled: 1-line block ×3, first 2 shown]
	v_fmamk_f16 v99, v81, 0x39a8, v82
	v_fmamk_f16 v20, v102, 0x39a8, v23
	;; [unrolled: 1-line block ×8, first 2 shown]
	v_sub_f16_e32 v101, v85, v95
	v_add_f16_e32 v92, v22, v100
	v_fmac_f16_e32 v99, 0xb9a8, v102
	v_fmac_f16_e32 v20, 0x39a8, v81
	v_sub_f16_e32 v104, v90, v103
	v_add_f16_e32 v102, v86, v97
	v_fmac_f16_e32 v105, 0xb9a8, v107
	v_fmac_f16_e32 v98, 0x39a8, v106
	;; [unrolled: 1-line block ×6, first 2 shown]
	v_fmamk_f16 v17, v104, 0x39a8, v101
	v_fmamk_f16 v81, v102, 0x39a8, v92
	;; [unrolled: 1-line block ×6, first 2 shown]
	v_fmac_f16_e32 v17, 0xb9a8, v102
	v_fmac_f16_e32 v81, 0x39a8, v104
	;; [unrolled: 1-line block ×6, first 2 shown]
	s_and_saveexec_b32 s0, vcc_lo
	s_cbranch_execz .LBB0_5
; %bb.4:
	v_fma_f16 v82, v82, 2.0, -v99
	v_fma_f16 v88, v88, 2.0, -v105
	;; [unrolled: 1-line block ×10, first 2 shown]
	v_fmamk_f16 v95, v88, 0xb61f, v82
	v_fma_f16 v29, v29, 2.0, -v98
	v_fma_f16 v23, v23, 2.0, -v20
	v_sub_f16_e32 v84, v83, v84
	v_sub_f16_e32 v89, v87, v89
	v_fma_f16 v85, v85, 2.0, -v101
	v_fma_f16 v90, v90, 2.0, -v104
	v_sub_f16_e32 v27, v25, v27
	v_sub_f16_e32 v31, v28, v31
	v_fmac_f16_e32 v95, 0xbb64, v29
	v_fmamk_f16 v29, v29, 0xb61f, v23
	v_fma_f16 v24, v24, 2.0, -v93
	v_fma_f16 v30, v30, 2.0, -v96
	v_sub_f16_e32 v109, v84, v89
	v_fmamk_f16 v97, v90, 0xb9a8, v85
	v_fma_f16 v86, v86, 2.0, -v102
	v_fma_f16 v22, v22, 2.0, -v92
	;; [unrolled: 1-line block ×5, first 2 shown]
	v_add_f16_e32 v99, v27, v31
	v_fmac_f16_e32 v29, 0x3b64, v88
	v_fmamk_f16 v88, v30, 0xbb64, v24
	v_fma_f16 v83, v83, 2.0, -v84
	v_fma_f16 v28, v28, 2.0, -v31
	;; [unrolled: 1-line block ×5, first 2 shown]
	v_fmac_f16_e32 v97, 0xb9a8, v86
	v_fmamk_f16 v84, v26, 0xbb64, v21
	v_fmamk_f16 v86, v86, 0xb9a8, v22
	v_fmac_f16_e32 v88, 0xb61f, v26
	v_sub_f16_e32 v26, v83, v28
	v_sub_f16_e32 v28, v25, v31
	v_fmac_f16_e32 v84, 0x361f, v30
	v_fmac_f16_e32 v86, 0x39a8, v90
	v_fma_f16 v85, v85, 2.0, -v97
	v_fma_f16 v30, v83, 2.0, -v26
	;; [unrolled: 1-line block ×13, first 2 shown]
	v_pack_b32_f16 v25, v30, v25
	v_fma_f16 v20, v20, 2.0, -v80
	v_pack_b32_f16 v21, v24, v21
	v_pack_b32_f16 v22, v85, v22
	;; [unrolled: 1-line block ×6, first 2 shown]
	ds_store_b32 v60, v25
	ds_store_2addr_b32 v37, v21, v22 offset0:13 offset1:26
	ds_store_2addr_b32 v37, v23, v24 offset0:39 offset1:52
	;; [unrolled: 1-line block ×3, first 2 shown]
	v_pack_b32_f16 v20, v100, v20
	v_pack_b32_f16 v21, v26, v28
	;; [unrolled: 1-line block ×6, first 2 shown]
	v_perm_b32 v26, v78, v16, 0x5040100
	v_perm_b32 v27, v81, v17, 0x5040100
	;; [unrolled: 1-line block ×3, first 2 shown]
	ds_store_2addr_b32 v37, v20, v21 offset0:91 offset1:104
	ds_store_2addr_b32 v37, v22, v23 offset0:117 offset1:130
	;; [unrolled: 1-line block ×4, first 2 shown]
	ds_store_b32 v37, v28 offset:780
.LBB0_5:
	s_wait_alu 0xfffe
	s_or_b32 exec_lo, exec_lo, s0
	global_wb scope:SCOPE_SE
	s_wait_dscnt 0x0
	s_barrier_signal -1
	s_barrier_wait -1
	global_inv scope:SCOPE_SE
	global_load_b32 v18, v[18:19], off offset:832
	s_add_nc_u64 s[0:1], s[8:9], 0x340
	s_clause 0xb
	global_load_b32 v30, v61, s[0:1] offset:64
	global_load_b32 v31, v61, s[0:1] offset:128
	;; [unrolled: 1-line block ×12, first 2 shown]
	ds_load_b32 v19, v60
	s_wait_dscnt 0x0
	v_lshrrev_b32_e32 v20, 16, v19
	s_wait_loadcnt 0xb
	v_lshrrev_b32_e32 v91, 16, v30
	s_wait_loadcnt 0xa
	;; [unrolled: 2-line block ×8, first 2 shown]
	v_lshrrev_b32_e32 v98, 16, v87
	v_lshrrev_b32_e32 v21, 16, v18
	s_wait_loadcnt 0x3
	v_lshrrev_b32_e32 v99, 16, v88
	s_wait_loadcnt 0x2
	;; [unrolled: 2-line block ×4, first 2 shown]
	v_lshrrev_b32_e32 v102, 16, v61
	v_mul_f16_e32 v22, v20, v21
	v_mul_f16_e32 v21, v19, v21
	s_delay_alu instid0(VALU_DEP_2) | instskip(NEXT) | instid1(VALU_DEP_2)
	v_fma_f16 v19, v19, v18, -v22
	v_fmac_f16_e32 v21, v20, v18
	s_delay_alu instid0(VALU_DEP_1)
	v_pack_b32_f16 v18, v19, v21
	ds_store_b32 v60, v18
	ds_load_2addr_b32 v[18:19], v37 offset0:16 offset1:32
	ds_load_2addr_b32 v[20:21], v37 offset0:48 offset1:64
	;; [unrolled: 1-line block ×6, first 2 shown]
	s_wait_dscnt 0x5
	v_lshrrev_b32_e32 v103, 16, v18
	v_lshrrev_b32_e32 v105, 16, v19
	s_wait_dscnt 0x4
	v_lshrrev_b32_e32 v107, 16, v20
	v_lshrrev_b32_e32 v109, 16, v21
	;; [unrolled: 3-line block ×6, first 2 shown]
	v_mul_f16_e32 v104, v18, v91
	v_mul_f16_e32 v106, v19, v92
	v_mul_f16_e32 v91, v103, v91
	v_mul_f16_e32 v92, v105, v92
	v_mul_f16_e32 v108, v20, v93
	v_mul_f16_e32 v110, v21, v94
	v_mul_f16_e32 v93, v107, v93
	v_mul_f16_e32 v94, v109, v94
	v_mul_f16_e32 v112, v22, v95
	v_mul_f16_e32 v114, v23, v96
	v_mul_f16_e32 v95, v111, v95
	v_mul_f16_e32 v96, v113, v96
	v_mul_f16_e32 v116, v24, v97
	v_mul_f16_e32 v118, v25, v98
	v_mul_f16_e32 v97, v115, v97
	v_mul_f16_e32 v98, v117, v98
	v_mul_f16_e32 v120, v26, v99
	v_mul_f16_e32 v122, v27, v100
	v_mul_f16_e32 v124, v28, v101
	v_mul_f16_e32 v126, v29, v102
	v_mul_f16_e32 v99, v119, v99
	v_mul_f16_e32 v100, v121, v100
	v_mul_f16_e32 v101, v123, v101
	v_mul_f16_e32 v102, v125, v102
	v_fmac_f16_e32 v104, v103, v30
	v_fmac_f16_e32 v106, v105, v31
	v_fma_f16 v18, v18, v30, -v91
	v_fma_f16 v19, v19, v31, -v92
	v_fmac_f16_e32 v108, v107, v82
	v_fmac_f16_e32 v110, v109, v83
	v_fma_f16 v20, v20, v82, -v93
	v_fma_f16 v21, v21, v83, -v94
	;; [unrolled: 4-line block ×4, first 2 shown]
	v_fmac_f16_e32 v120, v119, v88
	v_fmac_f16_e32 v122, v121, v89
	;; [unrolled: 1-line block ×4, first 2 shown]
	v_fma_f16 v26, v26, v88, -v99
	v_fma_f16 v27, v27, v89, -v100
	v_fma_f16 v28, v28, v90, -v101
	v_fma_f16 v29, v29, v61, -v102
	v_pack_b32_f16 v18, v18, v104
	v_pack_b32_f16 v19, v19, v106
	;; [unrolled: 1-line block ×12, first 2 shown]
	ds_store_2addr_b32 v37, v18, v19 offset0:16 offset1:32
	ds_store_2addr_b32 v37, v20, v21 offset0:48 offset1:64
	;; [unrolled: 1-line block ×6, first 2 shown]
	global_wb scope:SCOPE_SE
	s_wait_dscnt 0x0
	s_barrier_signal -1
	s_barrier_wait -1
	global_inv scope:SCOPE_SE
	ds_load_b32 v26, v60
	ds_load_2addr_b32 v[27:28], v37 offset0:16 offset1:32
	ds_load_2addr_b32 v[18:19], v37 offset0:176 offset1:192
	ds_load_2addr_b32 v[29:30], v37 offset0:48 offset1:64
	ds_load_2addr_b32 v[20:21], v37 offset0:144 offset1:160
	ds_load_2addr_b32 v[24:25], v37 offset0:80 offset1:96
	ds_load_2addr_b32 v[22:23], v37 offset0:112 offset1:128
	global_wb scope:SCOPE_SE
	s_wait_dscnt 0x0
	s_barrier_signal -1
	s_barrier_wait -1
	global_inv scope:SCOPE_SE
	v_lshrrev_b32_e32 v82, 16, v26
	v_pk_add_f16 v31, v26, v27
	v_pk_add_f16 v61, v19, v27
	;; [unrolled: 1-line block ×3, first 2 shown]
	v_pk_add_f16 v90, v28, v18 neg_lo:[0,1] neg_hi:[0,1]
	v_pk_add_f16 v27, v27, v19 neg_lo:[0,1] neg_hi:[0,1]
	v_pk_add_f16 v28, v31, v28
	v_lshrrev_b32_e32 v86, 16, v61
	v_pk_add_f16 v84, v21, v29
	v_lshrrev_b32_e32 v89, 16, v83
	v_pk_mul_f16 v31, 0xb770, v27 op_sel_hi:[0,1]
	v_pk_add_f16 v28, v28, v29
	v_lshrrev_b32_e32 v85, 16, v27
	v_mul_f16_e32 v115, 0x388b, v86
	v_mul_f16_e32 v117, 0x2fb7, v86
	;; [unrolled: 1-line block ×4, first 2 shown]
	v_pk_add_f16 v28, v28, v30
	v_pk_add_f16 v91, v29, v21 neg_lo:[0,1] neg_hi:[0,1]
	v_pk_add_f16 v92, v20, v30
	v_pk_add_f16 v94, v23, v24
	v_pk_add_f16 v95, v24, v23 neg_lo:[0,1] neg_hi:[0,1]
	v_pk_mul_f16 v87, 0xba95, v90 op_sel_hi:[0,1]
	v_lshrrev_b32_e32 v88, 16, v90
	v_lshrrev_b32_e32 v101, 16, v84
	v_pk_fma_f16 v114, 0x3b15, v61, v31 op_sel:[0,0,1] op_sel_hi:[0,1,0]
	v_pk_fma_f16 v31, 0x3b15, v61, v31 op_sel:[0,0,1] op_sel_hi:[0,1,0] neg_lo:[0,0,1] neg_hi:[0,0,1]
	v_mul_f16_e32 v29, 0xba95, v85
	v_mul_f16_e32 v116, 0xbbf1, v85
	;; [unrolled: 1-line block ×7, first 2 shown]
	v_fma_f16 v158, 0x3a95, v27, v115
	v_fmac_f16_e32 v115, 0xba95, v27
	v_fma_f16 v160, 0x3bf1, v27, v117
	v_fmac_f16_e32 v117, 0xbbf1, v27
	;; [unrolled: 2-line block ×4, first 2 shown]
	v_pk_add_f16 v24, v28, v24
	v_pk_add_f16 v93, v30, v20 neg_lo:[0,1] neg_hi:[0,1]
	v_pk_mul_f16 v99, 0xbbf1, v91 op_sel_hi:[0,1]
	v_lshrrev_b32_e32 v100, 16, v91
	v_lshrrev_b32_e32 v104, 16, v92
	v_pk_mul_f16 v111, 0xbbc4, v61 op_sel_hi:[0,1]
	v_mul_f16_e32 v85, 0xb94e, v85
	v_pk_fma_f16 v120, 0x388b, v83, v87 op_sel:[0,0,1] op_sel_hi:[0,1,0]
	v_pk_fma_f16 v121, 0x388b, v83, v87 op_sel:[0,0,1] op_sel_hi:[0,1,0] neg_lo:[0,0,1] neg_hi:[0,0,1]
	v_mul_f16_e32 v87, 0xbb7b, v88
	v_mul_f16_e32 v123, 0xb3a8, v88
	;; [unrolled: 1-line block ×3, first 2 shown]
	v_mul_f16_e64 v129, 0xbbc4, v101
	v_mul_f16_e64 v131, 0xb5ac, v101
	;; [unrolled: 1-line block ×3, first 2 shown]
	v_mul_f16_e32 v101, 0x388b, v101
	v_bfi_b32 v30, 0xffff, v114, v31
	v_fma_f16 v157, 0x388b, v61, v29
	v_fma_f16 v29, v61, 0x388b, -v29
	v_fma_f16 v159, 0x2fb7, v61, v116
	v_fma_f16 v116, v61, 0x2fb7, -v116
	v_fma_f16 v161, 0xb5ac, v61, v118
	v_fma_f16 v171, 0xbbf1, v90, v89
	v_fmac_f16_e32 v89, 0x3bf1, v90
	v_add_f16_e64 v28, v82, v158
	v_add_f16_e32 v115, v82, v115
	v_add_f16_e64 v158, v82, v160
	v_add_f16_e32 v117, v82, v117
	;; [unrolled: 2-line block ×4, first 2 shown]
	v_pk_add_f16 v24, v24, v25
	v_pk_add_f16 v96, v22, v25
	v_pk_add_f16 v97, v25, v22 neg_lo:[0,1] neg_hi:[0,1]
	v_pk_mul_f16 v102, 0xbb7b, v93 op_sel_hi:[0,1]
	v_lshrrev_b32_e32 v103, 16, v93
	v_lshrrev_b32_e32 v107, 16, v94
	v_mul_f16_e32 v88, 0x3bf1, v88
	v_pk_fma_f16 v127, 0x2fb7, v84, v99 op_sel:[0,0,1] op_sel_hi:[0,1,0]
	v_pk_fma_f16 v99, 0x2fb7, v84, v99 op_sel:[0,0,1] op_sel_hi:[0,1,0] neg_lo:[0,0,1] neg_hi:[0,0,1]
	v_mul_f16_e64 v128, 0xb3a8, v100
	v_mul_f16_e64 v130, 0x3b7b, v100
	;; [unrolled: 1-line block ×6, first 2 shown]
	v_mul_f16_e32 v104, 0xbbc4, v104
	v_pk_fma_f16 v155, 0xb3a8, v27, v111 op_sel:[0,0,1] op_sel_hi:[0,1,0]
	v_pk_fma_f16 v111, 0xb3a8, v27, v111 op_sel:[0,0,1] op_sel_hi:[0,1,0] neg_lo:[0,1,0] neg_hi:[0,1,0]
	v_fma_f16 v118, v61, 0xb5ac, -v118
	v_fma_f16 v163, 0xb9fd, v61, v85
	v_fma_f16 v61, v61, 0xb9fd, -v85
	v_bfi_b32 v27, 0xffff, v120, v121
	v_fmamk_f16 v85, v83, 0xb5ac, v87
	v_fma_f16 v165, 0x3b7b, v90, v122
	v_fma_f16 v87, v83, 0xb5ac, -v87
	v_fmac_f16_e32 v122, 0xbb7b, v90
	v_fma_f16 v166, 0xbbc4, v83, v123
	v_fma_f16 v167, 0x33a8, v90, v124
	v_fma_f16 v123, v83, 0xbbc4, -v123
	v_fmac_f16_e32 v124, 0xb3a8, v90
	v_fma_f16 v168, 0xb9fd, v83, v125
	v_fma_f16 v169, 0xb94e, v90, v126
	v_fmac_f16_e32 v126, 0x394e, v90
	v_fma_f16 v179, 0x3a95, v91, v101
	v_fmac_f16_e32 v101, 0xba95, v91
	v_pk_add_f16 v30, v26, v30
	v_add_f16_e64 v86, v26, v157
	v_add_f16_e32 v29, v26, v29
	v_add_f16_e64 v157, v26, v159
	v_add_f16_e32 v116, v26, v116
	;; [unrolled: 2-line block ×3, first 2 shown]
	v_pk_add_f16 v22, v24, v22
	v_pk_mul_f16 v105, 0xb94e, v95 op_sel_hi:[0,1]
	v_lshrrev_b32_e32 v106, 16, v95
	v_pk_mul_f16 v112, 0x3b15, v83 op_sel_hi:[0,1]
	v_mul_f16_e32 v100, 0xba95, v100
	v_pk_fma_f16 v134, 0xb5ac, v92, v102 op_sel:[0,0,1] op_sel_hi:[0,1,0]
	v_pk_fma_f16 v102, 0xb5ac, v92, v102 op_sel:[0,0,1] op_sel_hi:[0,1,0] neg_lo:[0,0,1] neg_hi:[0,0,1]
	v_mul_f16_e64 v135, 0x394e, v103
	v_mul_f16_e64 v137, 0x3770, v103
	;; [unrolled: 1-line block ×6, first 2 shown]
	v_mul_f16_e32 v107, 0x3b15, v107
	v_fma_f16 v125, v83, 0xb9fd, -v125
	v_fma_f16 v170, 0x2fb7, v83, v88
	v_fma_f16 v83, v83, 0x2fb7, -v88
	v_bfi_b32 v88, 0xffff, v127, v99
	v_fma_f16 v172, 0xbbc4, v84, v128
	v_fma_f16 v173, 0x33a8, v91, v129
	v_fma_f16 v128, v84, 0xbbc4, -v128
	v_fmac_f16_e64 v129, 0xb3a8, v91
	v_fma_f16 v174, 0xb5ac, v84, v130
	v_fma_f16 v175, 0xbb7b, v91, v131
	v_fma_f16 v130, v84, 0xb5ac, -v130
	v_fmac_f16_e64 v131, 0x3b7b, v91
	v_fma_f16 v176, 0x3b15, v84, v132
	v_fma_f16 v177, 0xb770, v91, v133
	v_fmac_f16_e64 v133, 0x3770, v91
	v_fma_f16 v187, 0xb3a8, v93, v104
	v_fmac_f16_e32 v104, 0x33a8, v93
	v_add_f16_e32 v118, v26, v118
	v_add_f16_e64 v161, v26, v163
	v_add_f16_e32 v61, v26, v61
	v_pk_add_f16 v25, v27, v30
	v_add_f16_e32 v27, v85, v86
	v_add_f16_e64 v28, v165, v28
	v_add_f16_e32 v29, v87, v29
	v_add_f16_e32 v30, v122, v115
	v_add_f16_e64 v85, v166, v157
	v_add_f16_e64 v86, v167, v158
	v_add_f16_e32 v87, v123, v116
	v_add_f16_e32 v115, v124, v117
	v_add_f16_e64 v116, v168, v159
	v_add_f16_e64 v117, v169, v160
	v_add_f16_e32 v119, v126, v119
	v_add_f16_e32 v82, v101, v82
	v_pk_add_f16 v22, v22, v23
	v_lshrrev_b32_e32 v109, 16, v97
	v_lshrrev_b32_e32 v110, 16, v96
	v_pk_mul_f16 v113, 0xb9fd, v84 op_sel_hi:[0,1]
	v_mul_f16_e32 v103, 0x33a8, v103
	v_pk_fma_f16 v141, 0xb9fd, v94, v105 op_sel:[0,0,1] op_sel_hi:[0,1,0]
	v_pk_fma_f16 v105, 0xb9fd, v94, v105 op_sel:[0,0,1] op_sel_hi:[0,1,0] neg_lo:[0,0,1] neg_hi:[0,0,1]
	v_mul_f16_e64 v142, 0x3bf1, v106
	v_mul_f16_e64 v144, 0xba95, v106
	;; [unrolled: 1-line block ×3, first 2 shown]
	v_fma_f16 v132, v84, 0x3b15, -v132
	v_fma_f16 v178, 0x388b, v84, v100
	v_fma_f16 v84, v84, 0x388b, -v100
	v_bfi_b32 v100, 0xffff, v134, v102
	v_fma_f16 v180, 0xb9fd, v92, v135
	v_fma_f16 v181, 0xb94e, v93, v136
	v_fma_f16 v135, v92, 0xb9fd, -v135
	v_fmac_f16_e64 v136, 0x394e, v93
	v_fma_f16 v182, 0x3b15, v92, v137
	v_fma_f16 v183, 0xb770, v93, v138
	v_fma_f16 v137, v92, 0x3b15, -v137
	v_fmac_f16_e64 v138, 0x3770, v93
	v_fma_f16 v184, 0x2fb7, v92, v139
	v_fma_f16 v185, 0x3bf1, v93, v140
	v_fmac_f16_e64 v140, 0xbbf1, v93
	v_fma_f16 v196, 0xb770, v95, v107
	v_fmac_f16_e32 v107, 0x3770, v95
	v_add_f16_e32 v118, v125, v118
	v_add_f16_e64 v122, v170, v161
	v_add_f16_e32 v61, v83, v61
	v_pk_add_f16 v24, v88, v25
	v_add_f16_e64 v25, v172, v27
	v_add_f16_e64 v27, v173, v28
	;; [unrolled: 1-line block ×11, first 2 shown]
	v_add_f16_e32 v82, v104, v82
	v_pk_add_f16 v20, v22, v20
	v_mul_f16_e32 v106, 0x3770, v106
	v_mul_f16_e64 v149, 0x3770, v109
	v_mul_f16_e64 v150, 0x3b15, v110
	;; [unrolled: 1-line block ×4, first 2 shown]
	v_fma_f16 v139, v92, 0x2fb7, -v139
	v_fma_f16 v186, 0xbbc4, v92, v103
	v_fma_f16 v103, v92, 0xbbc4, -v103
	v_bfi_b32 v188, 0xffff, v141, v105
	v_fma_f16 v189, 0x2fb7, v94, v142
	v_fma_f16 v190, 0xbbf1, v95, v143
	v_fma_f16 v142, v94, 0x2fb7, -v142
	v_fmac_f16_e64 v143, 0x3bf1, v95
	v_fma_f16 v191, 0x388b, v94, v144
	v_fma_f16 v192, 0x3a95, v95, v145
	v_fma_f16 v144, v94, 0x388b, -v144
	v_fmac_f16_e64 v145, 0xba95, v95
	v_fma_f16 v193, 0xbbc4, v94, v146
	v_fma_f16 v194, 0xb3a8, v95, v147
	v_fmac_f16_e64 v147, 0x33a8, v95
	v_add_f16_e64 v89, v132, v118
	v_add_f16_e64 v116, v178, v122
	v_add_f16_e32 v61, v84, v61
	v_pk_add_f16 v23, v100, v24
	v_add_f16_e64 v24, v180, v25
	v_add_f16_e64 v25, v181, v27
	;; [unrolled: 1-line block ×11, first 2 shown]
	v_add_f16_e32 v82, v107, v82
	v_pk_add_f16 v107, v20, v21
	v_mul_f16_e64 v151, 0xb94e, v109
	v_mul_f16_e64 v152, 0xb9fd, v110
	v_mul_f16_e32 v109, 0xbb7b, v109
	v_pk_fma_f16 v156, 0x3770, v90, v112 op_sel:[0,0,1] op_sel_hi:[0,1,0]
	v_fma_f16 v195, 0x3b15, v94, v106
	v_fma_f16 v198, 0x3b15, v96, v149
	;; [unrolled: 1-line block ×3, first 2 shown]
	v_fma_f16 v149, v96, 0x3b15, -v149
	v_fma_f16 v202, 0x388b, v96, v153
	v_fma_f16 v203, 0xba95, v97, v154
	v_fmac_f16_e64 v154, 0x3a95, v97
	s_wait_alu 0xfffe
	v_alignbit_b32 v206, s0, v155, 16
	v_add_f16_e64 v87, v139, v89
	v_add_f16_e64 v89, v186, v116
	v_add_f16_e32 v61, v103, v61
	v_pk_add_f16 v22, v188, v23
	v_add_f16_e64 v23, v189, v24
	v_add_f16_e64 v24, v190, v25
	;; [unrolled: 1-line block ×10, first 2 shown]
	v_pk_add_f16 v18, v107, v18
	v_alignbit_b32 v98, s0, v26, 16
	v_fma_f16 v146, v94, 0xbbc4, -v146
	v_fma_f16 v200, 0xb9fd, v96, v151
	v_fma_f16 v201, 0x394e, v97, v152
	v_fma_f16 v151, v96, 0xb9fd, -v151
	v_fma_f16 v204, 0xb5ac, v96, v109
	v_pk_add_f16 v163, v26, v206
	v_add_f16_e64 v104, v195, v89
	v_add_f16_e64 v88, v199, v24
	;; [unrolled: 1-line block ×5, first 2 shown]
	v_pk_add_f16 v18, v18, v19
	v_pk_add_f16 v19, v26, v111 op_sel:[1,0] op_sel_hi:[0,1]
	v_alignbit_b32 v25, s0, v156, 16
	v_pk_fma_f16 v90, 0x3770, v90, v112 op_sel:[0,0,1] op_sel_hi:[0,1,0] neg_lo:[0,1,0] neg_hi:[0,1,0]
	v_pk_fma_f16 v103, 0xb94e, v91, v113 op_sel:[0,0,1] op_sel_hi:[0,1,0]
	v_pk_mul_f16 v92, 0x388b, v92 op_sel_hi:[0,1]
	v_fma_f16 v106, v94, 0x3b15, -v106
	v_add_f16_e64 v101, v146, v87
	v_add_f16_e64 v87, v201, v29
	;; [unrolled: 1-line block ×4, first 2 shown]
	v_pk_add_f16 v98, v98, v155
	v_pk_add_f16 v25, v25, v163
	;; [unrolled: 1-line block ×3, first 2 shown]
	v_alignbit_b32 v90, s0, v103, 16
	v_pk_fma_f16 v91, 0xb94e, v91, v113 op_sel:[0,0,1] op_sel_hi:[0,1,0] neg_lo:[0,1,0] neg_hi:[0,1,0]
	v_pk_fma_f16 v104, 0x3a95, v93, v92 op_sel:[0,0,1] op_sel_hi:[0,1,0]
	v_pk_mul_f16 v94, 0xb5ac, v94 op_sel_hi:[0,1]
	v_pk_add_f16 v98, v156, v98
	v_pk_add_f16 v25, v90, v25
	;; [unrolled: 1-line block ×3, first 2 shown]
	v_alignbit_b32 v90, s0, v104, 16
	v_pk_fma_f16 v91, 0x3a95, v93, v92 op_sel:[0,0,1] op_sel_hi:[0,1,0] neg_lo:[0,1,0] neg_hi:[0,1,0]
	v_pk_fma_f16 v92, 0xbb7b, v95, v94 op_sel:[0,0,1] op_sel_hi:[0,1,0]
	v_bfi_b32 v31, 0xffff, v31, v114
	v_pk_add_f16 v93, v103, v98
	v_pk_add_f16 v25, v90, v25
	;; [unrolled: 1-line block ×3, first 2 shown]
	v_alignbit_b32 v90, s0, v92, 16
	v_pk_mul_f16 v91, 0x2fb7, v96 op_sel_hi:[0,1]
	v_pk_add_f16 v26, v26, v31
	v_bfi_b32 v31, 0xffff, v121, v120
	v_pk_add_f16 v93, v104, v93
	v_pk_fma_f16 v94, 0xbb7b, v95, v94 op_sel:[0,0,1] op_sel_hi:[0,1,0] neg_lo:[0,1,0] neg_hi:[0,1,0]
	v_pk_add_f16 v25, v90, v25
	v_pk_fma_f16 v90, 0x3bf1, v97, v91 op_sel:[0,0,1] op_sel_hi:[0,1,0]
	v_pk_add_f16 v26, v31, v26
	v_bfi_b32 v31, 0xffff, v99, v127
	v_add_f16_e64 v123, v171, v162
	v_pk_mul_f16 v108, 0xb3a8, v97 op_sel_hi:[0,1]
	v_pk_add_f16 v19, v94, v19
	v_pk_add_f16 v92, v92, v93
	v_alignbit_b32 v93, s0, v90, 16
	v_pk_fma_f16 v91, 0x3bf1, v97, v91 op_sel:[0,0,1] op_sel_hi:[0,1,0] neg_lo:[0,1,0] neg_hi:[0,1,0]
	v_pk_add_f16 v26, v31, v26
	v_bfi_b32 v94, 0xffff, v102, v134
	v_add_f16_e64 v117, v179, v123
	v_pk_fma_f16 v148, 0xbbc4, v96, v108 op_sel:[0,0,1] op_sel_hi:[0,1,0]
	v_pk_fma_f16 v108, 0xbbc4, v96, v108 op_sel:[0,0,1] op_sel_hi:[0,1,0] neg_lo:[0,0,1] neg_hi:[0,0,1]
	v_pk_add_f16 v31, v93, v25
	v_pk_add_f16 v91, v91, v19
	;; [unrolled: 1-line block ×3, first 2 shown]
	v_bfi_b32 v25, 0xffff, v105, v141
	v_mul_f16_e32 v110, 0xb5ac, v110
	v_add_f16_e64 v100, v187, v117
	v_bfi_b32 v197, 0xffff, v148, v108
	v_fmac_f16_e64 v152, 0xb94e, v97
	v_pk_add_f16 v19, v25, v19
	v_bfi_b32 v25, 0xffff, v108, v148
	v_fma_f16 v205, 0x3b7b, v97, v110
	v_add_f16_e64 v85, v194, v86
	v_add_f16_e64 v100, v196, v100
	v_fmac_f16_e64 v150, 0x3770, v97
	v_fma_f16 v153, v96, 0x388b, -v153
	v_fma_f16 v109, v96, 0xb5ac, -v109
	v_fmac_f16_e32 v110, 0xbb7b, v97
	v_add_f16_e32 v106, v106, v61
	v_pk_add_f16 v22, v197, v22
	v_pk_add_f16 v25, v25, v19
	v_add_f16_e64 v23, v198, v23
	v_add_f16_e64 v20, v200, v28
	;; [unrolled: 1-line block ×5, first 2 shown]
	v_pk_add_f16 v90, v90, v92
	v_add_f16_e64 v86, v150, v27
	v_add_f16_e64 v28, v153, v101
	v_add_f16_e32 v27, v109, v106
	v_add_f16_e32 v82, v110, v82
	v_lshrrev_b32_e32 v85, 16, v22
	v_lshrrev_b32_e32 v26, 16, v91
	;; [unrolled: 1-line block ×3, first 2 shown]
	v_pack_b32_f16 v100, v20, v87
	v_pack_b32_f16 v101, v23, v88
	;; [unrolled: 1-line block ×4, first 2 shown]
	v_alignbit_b32 v93, v90, v91, 16
	v_pack_b32_f16 v94, v31, v91
	v_pack_b32_f16 v96, v28, v84
	;; [unrolled: 1-line block ×5, first 2 shown]
	ds_store_2addr_b32 v65, v18, v22 offset1:1
	ds_store_2addr_b32 v65, v101, v100 offset0:2 offset1:3
	ds_store_2addr_b32 v65, v92, v95 offset0:4 offset1:5
	;; [unrolled: 1-line block ×5, first 2 shown]
	ds_store_b32 v65, v25 offset:48
	global_wb scope:SCOPE_SE
	s_wait_dscnt 0x0
	s_barrier_signal -1
	s_barrier_wait -1
	global_inv scope:SCOPE_SE
	s_and_saveexec_b32 s0, vcc_lo
	s_cbranch_execz .LBB0_7
; %bb.6:
	ds_load_2addr_b32 v[22:23], v37 offset0:13 offset1:26
	ds_load_2addr_b32 v[20:21], v37 offset0:39 offset1:52
	;; [unrolled: 1-line block ×7, first 2 shown]
	ds_load_b32 v79, v37 offset:780
	ds_load_b32 v18, v60
	s_wait_dscnt 0x8
	v_lshrrev_b32_e32 v85, 16, v22
	v_lshrrev_b32_e32 v88, 16, v23
	s_wait_dscnt 0x7
	v_lshrrev_b32_e32 v87, 16, v20
	v_lshrrev_b32_e32 v61, 16, v21
	;; [unrolled: 3-line block ×7, first 2 shown]
	s_wait_dscnt 0x1
	v_lshrrev_b32_e32 v80, 16, v79
.LBB0_7:
	s_wait_alu 0xfffe
	s_or_b32 exec_lo, exec_lo, s0
	s_and_saveexec_b32 s0, vcc_lo
	s_cbranch_execz .LBB0_9
; %bb.8:
	v_mul_f16_e32 v65, v74, v23
	v_mul_f16_e32 v92, v75, v29
	;; [unrolled: 1-line block ×5, first 2 shown]
	v_fma_f16 v65, v1, v88, -v65
	v_mul_f16_e32 v74, v74, v88
	v_mul_f16_e32 v88, v72, v90
	v_fma_f16 v92, v9, v89, -v92
	v_fmac_f16_e32 v93, v5, v31
	v_fmac_f16_e32 v94, v13, v17
	v_mul_f16_e32 v17, v77, v17
	v_mul_f16_e32 v75, v75, v89
	v_fma_f16 v5, v5, v91, -v76
	v_mul_f16_e32 v76, v70, v20
	v_fmac_f16_e32 v88, v6, v26
	v_mul_f16_e32 v96, v68, v83
	v_mul_f16_e32 v26, v72, v26
	;; [unrolled: 1-line block ×3, first 2 shown]
	v_sub_f16_e32 v31, v65, v92
	v_fma_f16 v13, v13, v81, -v17
	v_fmac_f16_e32 v74, v1, v23
	v_fmac_f16_e32 v75, v9, v29
	v_mul_f16_e32 v1, v62, v21
	v_mul_f16_e32 v9, v63, v25
	v_mul_f16_e32 v17, v64, v82
	v_mul_f16_e32 v81, v71, v24
	v_mul_f16_e32 v89, v73, v80
	v_fma_f16 v76, v2, v87, -v76
	v_mul_f16_e32 v92, v66, v22
	v_mul_f16_e32 v72, v73, v79
	v_fmac_f16_e32 v96, v4, v30
	v_fma_f16 v6, v6, v90, -v26
	v_fmac_f16_e32 v70, v2, v20
	v_mul_f16_e32 v2, v71, v86
	v_mul_f16_e32 v20, v68, v30
	;; [unrolled: 1-line block ×5, first 2 shown]
	v_fma_f16 v1, v3, v61, -v1
	v_fma_f16 v9, v11, v19, -v9
	v_fmac_f16_e32 v17, v7, v27
	v_fma_f16 v81, v10, v86, -v81
	v_fmac_f16_e32 v89, v14, v79
	v_mul_f16_e32 v95, v67, v28
	v_mul_f16_e32 v73, v69, v78
	v_fma_f16 v14, v14, v80, -v72
	v_fmac_f16_e32 v2, v10, v24
	v_fma_f16 v4, v4, v83, -v20
	v_fma_f16 v10, v12, v78, -v26
	v_fmac_f16_e32 v30, v0, v22
	v_fmac_f16_e32 v66, v8, v28
	v_mul_f16_e32 v24, v64, v27
	v_mul_f16_e32 v26, v62, v61
	;; [unrolled: 1-line block ×3, first 2 shown]
	v_sub_f16_e32 v13, v5, v13
	v_sub_f16_e32 v23, v74, v75
	;; [unrolled: 1-line block ×3, first 2 shown]
	s_wait_dscnt 0x0
	v_sub_f16_e32 v17, v18, v17
	v_fma_f16 v92, v0, v85, -v92
	v_fma_f16 v95, v8, v84, -v95
	v_fmac_f16_e32 v73, v12, v16
	v_sub_f16_e32 v0, v6, v14
	v_sub_f16_e32 v2, v70, v2
	;; [unrolled: 1-line block ×4, first 2 shown]
	v_fma_f16 v7, v7, v82, -v24
	v_fmac_f16_e32 v26, v3, v21
	v_fmac_f16_e32 v19, v11, v25
	v_lshrrev_b32_e32 v3, 16, v18
	v_sub_f16_e32 v77, v93, v94
	v_add_f16_e32 v75, v13, v23
	v_add_f16_e32 v91, v9, v17
	v_sub_f16_e32 v81, v76, v81
	v_sub_f16_e32 v89, v88, v89
	;; [unrolled: 1-line block ×4, first 2 shown]
	v_add_f16_e32 v20, v0, v2
	v_add_f16_e32 v22, v8, v10
	v_sub_f16_e32 v19, v26, v19
	v_sub_f16_e32 v7, v3, v7
	;; [unrolled: 1-line block ×3, first 2 shown]
	v_fmamk_f16 v94, v75, 0x39a8, v91
	v_sub_f16_e32 v12, v81, v89
	v_sub_f16_e32 v27, v14, v16
	v_fmamk_f16 v28, v20, 0x39a8, v22
	v_fma_f16 v21, v65, 2.0, -v31
	v_fma_f16 v5, v5, 2.0, -v13
	;; [unrolled: 1-line block ×4, first 2 shown]
	v_sub_f16_e32 v19, v7, v19
	v_fma_f16 v26, v76, 2.0, -v81
	v_fma_f16 v0, v6, 2.0, -v0
	;; [unrolled: 1-line block ×4, first 2 shown]
	v_fmac_f16_e32 v94, 0x39a8, v29
	v_fmamk_f16 v11, v12, 0x39a8, v27
	v_fmac_f16_e32 v28, 0x39a8, v12
	v_sub_f16_e32 v5, v21, v5
	v_sub_f16_e32 v18, v13, v18
	v_fma_f16 v25, v92, 2.0, -v14
	v_fma_f16 v4, v4, 2.0, -v8
	v_fma_f16 v8, v70, 2.0, -v2
	v_fma_f16 v30, v88, 2.0, -v89
	v_sub_f16_e32 v0, v26, v0
	v_sub_f16_e32 v16, v6, v16
	v_fmamk_f16 v61, v29, 0x39a8, v19
	v_fma_f16 v3, v3, 2.0, -v7
	v_fma_f16 v1, v1, 2.0, -v9
	;; [unrolled: 1-line block ×12, first 2 shown]
	v_fmac_f16_e32 v11, 0xb9a8, v20
	v_fmamk_f16 v24, v28, 0x3b64, v94
	v_add_f16_e32 v62, v5, v18
	v_sub_f16_e32 v4, v25, v4
	v_sub_f16_e32 v30, v8, v30
	v_add_f16_e32 v63, v0, v16
	v_fmac_f16_e32 v61, 0xb9a8, v75
	v_sub_f16_e32 v1, v3, v1
	v_sub_f16_e32 v20, v67, v68
	v_fmamk_f16 v31, v23, 0xb9a8, v17
	v_fmamk_f16 v68, v12, 0xb9a8, v14
	;; [unrolled: 1-line block ×4, first 2 shown]
	v_fma_f16 v73, v91, 2.0, -v94
	v_fma_f16 v22, v22, 2.0, -v28
	v_fmac_f16_e32 v24, 0x361f, v11
	v_sub_f16_e32 v64, v4, v30
	v_fmamk_f16 v65, v63, 0x39a8, v62
	v_fmamk_f16 v66, v11, 0x3b64, v61
	v_sub_f16_e32 v71, v1, v20
	v_fmac_f16_e32 v31, 0x39a8, v29
	v_fmac_f16_e32 v68, 0xb9a8, v2
	;; [unrolled: 1-line block ×4, first 2 shown]
	v_fma_f16 v13, v13, 2.0, -v18
	v_fma_f16 v20, v67, 2.0, -v20
	;; [unrolled: 1-line block ×9, first 2 shown]
	v_fmamk_f16 v27, v22, 0xb61f, v73
	v_fma_f16 v19, v19, 2.0, -v61
	v_fma_f16 v18, v18, 2.0, -v62
	;; [unrolled: 1-line block ×3, first 2 shown]
	v_fmac_f16_e32 v65, 0x39a8, v64
	v_sub_f16_e32 v20, v13, v20
	v_sub_f16_e32 v0, v25, v0
	;; [unrolled: 1-line block ×4, first 2 shown]
	v_fmac_f16_e32 v27, 0x3b64, v11
	v_fmamk_f16 v11, v11, 0xb61f, v19
	v_fma_f16 v17, v17, 2.0, -v31
	v_fma_f16 v10, v10, 2.0, -v69
	;; [unrolled: 1-line block ×4, first 2 shown]
	v_fmac_f16_e32 v66, 0xb61f, v28
	v_fma_f16 v4, v4, 2.0, -v64
	v_fmamk_f16 v28, v16, 0xb9a8, v18
	v_fma_f16 v1, v1, 2.0, -v71
	v_fma_f16 v2, v62, 2.0, -v65
	v_add_f16_e32 v72, v20, v0
	v_sub_f16_e32 v62, v5, v8
	v_fmac_f16_e32 v11, 0xbb64, v22
	v_fmamk_f16 v22, v10, 0xbb64, v17
	v_fma_f16 v13, v13, 2.0, -v20
	v_fma_f16 v6, v6, 2.0, -v8
	;; [unrolled: 1-line block ×4, first 2 shown]
	v_fmamk_f16 v8, v14, 0xbb64, v7
	v_fmac_f16_e32 v28, 0x39a8, v4
	v_fmamk_f16 v4, v4, 0xb9a8, v1
	v_fmamk_f16 v12, v64, 0x39a8, v71
	;; [unrolled: 1-line block ×4, first 2 shown]
	v_fmac_f16_e32 v22, 0x361f, v14
	v_sub_f16_e32 v6, v13, v6
	v_sub_f16_e32 v0, v3, v0
	v_fmac_f16_e32 v8, 0xb61f, v10
	v_fmac_f16_e32 v4, 0xb9a8, v16
	;; [unrolled: 1-line block ×5, first 2 shown]
	v_fma_f16 v63, v73, 2.0, -v27
	v_fma_f16 v10, v17, 2.0, -v22
	;; [unrolled: 1-line block ×14, first 2 shown]
	v_pack_b32_f16 v3, v13, v3
	v_pack_b32_f16 v7, v10, v7
	;; [unrolled: 1-line block ×3, first 2 shown]
	v_fma_f16 v14, v61, 2.0, -v66
	v_pack_b32_f16 v1, v18, v1
	v_pack_b32_f16 v5, v30, v5
	;; [unrolled: 1-line block ×4, first 2 shown]
	ds_store_b32 v60, v3
	ds_store_2addr_b32 v37, v7, v1 offset0:13 offset1:26
	ds_store_2addr_b32 v37, v10, v5 offset0:39 offset1:52
	;; [unrolled: 1-line block ×3, first 2 shown]
	v_pack_b32_f16 v1, v9, v14
	v_pack_b32_f16 v0, v6, v0
	;; [unrolled: 1-line block ×9, first 2 shown]
	ds_store_2addr_b32 v37, v1, v0 offset0:91 offset1:104
	ds_store_2addr_b32 v37, v2, v3 offset0:117 offset1:130
	ds_store_2addr_b32 v37, v4, v5 offset0:143 offset1:156
	ds_store_2addr_b32 v37, v6, v7 offset0:169 offset1:182
	ds_store_b32 v37, v8 offset:780
.LBB0_9:
	s_wait_alu 0xfffe
	s_or_b32 exec_lo, exec_lo, s0
	global_wb scope:SCOPE_SE
	s_wait_dscnt 0x0
	s_barrier_signal -1
	s_barrier_wait -1
	global_inv scope:SCOPE_SE
	ds_load_b32 v2, v60
	ds_load_2addr_b32 v[0:1], v37 offset0:16 offset1:32
	s_mov_b32 s8, 0x13b13b14
	s_mov_b32 s9, 0x3f73b13b
	ds_load_2addr_b32 v[12:13], v37 offset0:48 offset1:64
	v_mad_co_u64_u32 v[16:17], null, s4, v52, 0
	s_wait_dscnt 0x2
	v_lshrrev_b32_e32 v3, 16, v2
	v_mul_f16_e32 v4, v59, v2
	s_wait_dscnt 0x1
	v_lshrrev_b32_e32 v5, 16, v0
	v_mul_f16_e32 v6, v58, v0
	v_lshrrev_b32_e32 v10, 16, v1
	v_mul_f16_e32 v7, v59, v3
	v_fma_f16 v4, v56, v3, -v4
	v_mul_f16_e32 v8, v58, v5
	v_fma_f16 v3, v55, v5, -v6
	v_mul_f16_e32 v11, v57, v1
	v_fmac_f16_e32 v7, v56, v2
	v_cvt_f32_f16_e32 v4, v4
	v_fmac_f16_e32 v8, v55, v0
	v_cvt_f32_f16_e32 v5, v3
	v_mul_f16_e32 v0, v57, v10
	v_cvt_f32_f16_e32 v6, v7
	v_cvt_f64_f32_e32 v[2:3], v4
	v_cvt_f32_f16_e32 v8, v8
	v_cvt_f64_f32_e32 v[4:5], v5
	v_fmac_f16_e32 v0, v54, v1
	v_cvt_f64_f32_e32 v[6:7], v6
	v_fma_f16 v14, v54, v10, -v11
	v_cvt_f64_f32_e32 v[8:9], v8
	v_mad_co_u64_u32 v[10:11], null, s6, v15, 0
	v_cvt_f32_f16_e32 v0, v0
	s_delay_alu instid0(VALU_DEP_4) | instskip(NEXT) | instid1(VALU_DEP_2)
	v_cvt_f32_f16_e32 v14, v14
	v_cvt_f64_f32_e32 v[0:1], v0
	s_wait_dscnt 0x0
	s_delay_alu instid0(VALU_DEP_4) | instskip(NEXT) | instid1(VALU_DEP_3)
	v_mad_co_u64_u32 v[20:21], null, s7, v15, v[11:12]
	v_cvt_f64_f32_e32 v[18:19], v14
	v_mov_b32_e32 v14, v17
	v_lshrrev_b32_e32 v21, 16, v12
	s_delay_alu instid0(VALU_DEP_4) | instskip(NEXT) | instid1(VALU_DEP_3)
	v_mov_b32_e32 v11, v20
	v_mad_co_u64_u32 v[14:15], null, s5, v52, v[14:15]
	s_delay_alu instid0(VALU_DEP_3) | instskip(NEXT) | instid1(VALU_DEP_3)
	v_mul_f16_e32 v20, v53, v21
	v_lshlrev_b64_e32 v[10:11], 2, v[10:11]
	s_delay_alu instid0(VALU_DEP_2) | instskip(NEXT) | instid1(VALU_DEP_2)
	v_fmac_f16_e32 v20, v50, v12
	v_add_co_u32 v10, vcc_lo, s2, v10
	s_wait_alu 0xfffd
	s_delay_alu instid0(VALU_DEP_3)
	v_add_co_ci_u32_e32 v11, vcc_lo, s3, v11, vcc_lo
	s_wait_alu 0xfffe
	v_mul_f64_e32 v[2:3], s[8:9], v[2:3]
	v_mul_f64_e32 v[4:5], s[8:9], v[4:5]
	;; [unrolled: 1-line block ×5, first 2 shown]
	v_and_or_b32 v2, 0x1ff, v3, v2
	v_bfe_u32 v22, v5, 20, 11
	v_mov_b32_e32 v17, v14
	v_and_or_b32 v4, 0x1ff, v5, v4
	v_and_or_b32 v6, 0x1ff, v7, v6
	;; [unrolled: 1-line block ×3, first 2 shown]
	v_sub_nc_u32_e32 v28, 0x3f1, v22
	v_add_nc_u32_e32 v22, 0xfffffc10, v22
	v_lshlrev_b64_e32 v[14:15], 2, v[16:17]
	v_cvt_f32_f16_e32 v16, v20
	v_bfe_u32 v24, v7, 20, 11
	v_lshrrev_b32_e32 v20, 8, v5
	v_lshrrev_b32_e32 v23, 8, v7
	v_and_or_b32 v0, 0x1ff, v1, v0
	v_add_co_u32 v10, vcc_lo, v10, v14
	s_wait_alu 0xfffd
	v_add_co_ci_u32_e32 v11, vcc_lo, v11, v15, vcc_lo
	v_cmp_ne_u32_e32 vcc_lo, 0, v2
	v_cvt_f64_f32_e32 v[14:15], v16
	v_mul_f64_e32 v[16:17], s[8:9], v[18:19]
	v_lshrrev_b32_e32 v18, 8, v3
	v_bfe_u32 v19, v3, 20, 11
	s_wait_alu 0xfffd
	v_cndmask_b32_e64 v2, 0, 1, vcc_lo
	v_cmp_ne_u32_e32 vcc_lo, 0, v4
	v_sub_nc_u32_e32 v31, 0x3f1, v24
	v_lshrrev_b32_e32 v26, 8, v9
	v_sub_nc_u32_e32 v25, 0x3f1, v19
	v_and_or_b32 v2, 0xffe, v18, v2
	s_wait_alu 0xfffd
	v_cndmask_b32_e64 v4, 0, 1, vcc_lo
	v_cmp_ne_u32_e32 vcc_lo, 0, v6
	v_add_nc_u32_e32 v19, 0xfffffc10, v19
	v_med3_i32 v18, v25, 0, 13
	v_bfe_u32 v27, v9, 20, 11
	v_and_or_b32 v4, 0xffe, v20, v4
	s_wait_alu 0xfffd
	v_cndmask_b32_e64 v6, 0, 1, vcc_lo
	v_cmp_ne_u32_e32 vcc_lo, 0, v8
	v_lshrrev_b32_e32 v29, 8, v1
	v_add_nc_u32_e32 v24, 0xfffffc10, v24
	v_med3_i32 v20, v28, 0, 13
	v_and_or_b32 v6, 0xffe, v23, v6
	s_wait_alu 0xfffd
	v_cndmask_b32_e64 v8, 0, 1, vcc_lo
	v_cmp_ne_u32_e32 vcc_lo, 0, v0
	v_med3_i32 v23, v31, 0, 13
	v_or_b32_e32 v31, 0x1000, v2
	v_lshl_or_b32 v52, v19, 12, v2
	v_and_or_b32 v8, 0xffe, v26, v8
	s_wait_alu 0xfffd
	v_cndmask_b32_e64 v0, 0, 1, vcc_lo
	v_cmp_ne_u32_e32 vcc_lo, 0, v2
	v_or_b32_e32 v26, 0x1000, v4
	v_lshrrev_b32_e32 v56, v18, v31
	v_sub_nc_u32_e32 v25, 0x3f1, v27
	v_lshl_or_b32 v54, v22, 12, v4
	s_wait_alu 0xfffd
	v_cndmask_b32_e64 v2, 0, 1, vcc_lo
	v_cmp_ne_u32_e32 vcc_lo, 0, v6
	v_add_nc_u32_e32 v27, 0xfffffc10, v27
	v_and_or_b32 v0, 0xffe, v29, v0
	v_or_b32_e32 v29, 0x1000, v6
	v_lshl_or_b32 v55, v24, 12, v6
	s_wait_alu 0xfffd
	v_cndmask_b32_e64 v6, 0, 1, vcc_lo
	v_cmp_ne_u32_e32 vcc_lo, 0, v8
	v_lshrrev_b32_e32 v59, v20, v26
	v_lshlrev_b32_e32 v18, v18, v56
	v_med3_i32 v25, v25, 0, 13
	v_or_b32_e32 v57, 0x1000, v8
	v_lshl_or_b32 v58, v27, 12, v8
	s_wait_alu 0xfffd
	v_cndmask_b32_e64 v8, 0, 1, vcc_lo
	v_lshrrev_b32_e32 v60, v23, v29
	v_lshlrev_b32_e32 v20, v20, v59
	v_cmp_ne_u32_e32 vcc_lo, v18, v31
	v_lshrrev_b32_e32 v61, v25, v57
	v_lshl_or_b32 v8, v8, 9, 0x7c00
	v_lshlrev_b32_e32 v23, v23, v60
	v_lshl_or_b32 v6, v6, 9, 0x7c00
	s_wait_alu 0xfffd
	v_cndmask_b32_e64 v18, 0, 1, vcc_lo
	v_cmp_ne_u32_e32 vcc_lo, v20, v26
	v_lshlrev_b32_e32 v25, v25, v61
	v_lshrrev_b32_e32 v7, 16, v7
	v_lshl_or_b32 v2, v2, 9, 0x7c00
	v_or_b32_e32 v18, v56, v18
	s_wait_alu 0xfffd
	v_cndmask_b32_e64 v20, 0, 1, vcc_lo
	v_cmp_ne_u32_e32 vcc_lo, v23, v29
	v_lshrrev_b32_e32 v3, 16, v3
	v_bfe_u32 v30, v1, 20, 11
	s_delay_alu instid0(VALU_DEP_4) | instskip(SKIP_4) | instid1(VALU_DEP_3)
	v_or_b32_e32 v20, v59, v20
	s_wait_alu 0xfffd
	v_cndmask_b32_e64 v23, 0, 1, vcc_lo
	v_cmp_ne_u32_e32 vcc_lo, v25, v57
	v_sub_nc_u32_e32 v28, 0x3f1, v30
	v_or_b32_e32 v23, v60, v23
	s_wait_alu 0xfffd
	v_cndmask_b32_e64 v25, 0, 1, vcc_lo
	v_cmp_gt_i32_e32 vcc_lo, 1, v19
	s_delay_alu instid0(VALU_DEP_2) | instskip(SKIP_4) | instid1(VALU_DEP_2)
	v_or_b32_e32 v25, v61, v25
	s_wait_alu 0xfffd
	v_cndmask_b32_e32 v18, v52, v18, vcc_lo
	v_cmp_gt_i32_e32 vcc_lo, 1, v24
	s_wait_alu 0xfffd
	v_dual_cndmask_b32 v23, v55, v23 :: v_dual_and_b32 v26, 7, v18
	v_cmp_gt_i32_e32 vcc_lo, 1, v22
	v_lshrrev_b32_e32 v18, 2, v18
	s_delay_alu instid0(VALU_DEP_3)
	v_cmp_lt_i32_e64 s1, 5, v26
	s_wait_alu 0xfffd
	v_dual_cndmask_b32 v20, v54, v20 :: v_dual_and_b32 v29, 7, v23
	v_cmp_gt_i32_e32 vcc_lo, 1, v27
	v_lshrrev_b32_e32 v23, 2, v23
	v_cmp_eq_u32_e64 s2, 3, v26
	s_delay_alu instid0(VALU_DEP_4) | instskip(SKIP_4) | instid1(VALU_DEP_2)
	v_cmp_eq_u32_e64 s0, 3, v29
	v_and_b32_e32 v31, 7, v20
	s_wait_alu 0xfffd
	v_cndmask_b32_e32 v25, v58, v25, vcc_lo
	v_cmp_lt_i32_e32 vcc_lo, 5, v29
	v_and_b32_e32 v26, 7, v25
	s_or_b32 vcc_lo, s0, vcc_lo
	v_cmp_gt_i32_e64 s0, 31, v19
	s_wait_alu 0xfffe
	v_add_co_ci_u32_e32 v23, vcc_lo, 0, v23, vcc_lo
	s_or_b32 vcc_lo, s2, s1
	v_cmp_eq_u32_e64 s2, 0x40f, v19
	s_wait_alu 0xfffe
	v_add_co_ci_u32_e32 v18, vcc_lo, 0, v18, vcc_lo
	v_cmp_gt_i32_e32 vcc_lo, 31, v24
	v_lshrrev_b32_e32 v25, 2, v25
	v_cmp_lt_i32_e64 s1, 5, v31
	s_delay_alu instid0(VALU_DEP_4)
	v_cndmask_b32_e64 v18, 0x7c00, v18, s0
	v_cmp_eq_u32_e64 s0, 0x40f, v24
	s_wait_alu 0xfffd
	v_cndmask_b32_e32 v23, 0x7c00, v23, vcc_lo
	v_cmp_lt_i32_e32 vcc_lo, 5, v26
	s_wait_alu 0xf1ff
	v_cndmask_b32_e64 v2, v18, v2, s2
	s_lshl_b64 s[2:3], s[4:5], 6
	v_cndmask_b32_e64 v6, v23, v6, s0
	v_cmp_eq_u32_e64 s0, 3, v26
	s_delay_alu instid0(VALU_DEP_3) | instskip(NEXT) | instid1(VALU_DEP_3)
	v_and_or_b32 v2, 0x8000, v3, v2
	v_and_or_b32 v6, 0x8000, v7, v6
	s_delay_alu instid0(VALU_DEP_3)
	s_or_b32 vcc_lo, s0, vcc_lo
	v_cmp_gt_i32_e64 s0, 31, v27
	s_wait_alu 0xfffe
	v_add_co_ci_u32_e32 v7, vcc_lo, 0, v25, vcc_lo
	v_cmp_eq_u32_e32 vcc_lo, 3, v31
	v_and_b32_e32 v3, 0xffff, v6
	v_lshrrev_b32_e32 v6, 2, v20
	s_wait_alu 0xf1ff
	v_cndmask_b32_e64 v7, 0x7c00, v7, s0
	s_or_b32 vcc_lo, vcc_lo, s1
	v_lshl_or_b32 v18, v2, 16, v3
	s_wait_alu 0xfffe
	v_add_co_ci_u32_e32 v2, vcc_lo, 0, v6, vcc_lo
	v_cmp_ne_u32_e32 vcc_lo, 0, v4
	v_or_b32_e32 v3, 0x1000, v0
	v_med3_i32 v6, v28, 0, 13
	global_store_b32 v[10:11], v18, off
	s_wait_alu 0xfffd
	v_cndmask_b32_e64 v4, 0, 1, vcc_lo
	v_cmp_gt_i32_e32 vcc_lo, 31, v22
	v_lshrrev_b32_e32 v19, v6, v3
	s_delay_alu instid0(VALU_DEP_3)
	v_lshl_or_b32 v4, v4, 9, 0x7c00
	s_wait_alu 0xfffd
	v_cndmask_b32_e32 v2, 0x7c00, v2, vcc_lo
	v_cmp_eq_u32_e32 vcc_lo, 0x40f, v27
	s_wait_alu 0xfffd
	v_dual_cndmask_b32 v7, v7, v8 :: v_dual_lshlrev_b32 v6, v6, v19
	v_cmp_eq_u32_e32 vcc_lo, 0x40f, v22
	v_lshrrev_b32_e32 v8, 16, v9
	s_wait_alu 0xfffd
	v_cndmask_b32_e32 v2, v2, v4, vcc_lo
	v_cmp_ne_u32_e32 vcc_lo, v6, v3
	v_lshrrev_b32_e32 v4, 16, v5
	v_mul_f16_e32 v5, v53, v12
	v_add_nc_u32_e32 v12, 0xfffffc10, v30
	v_and_or_b32 v6, 0x8000, v8, v7
	s_wait_alu 0xfffd
	v_cndmask_b32_e64 v3, 0, 1, vcc_lo
	v_and_or_b32 v7, 0x8000, v4, v2
	v_fma_f16 v5, v50, v21, -v5
	v_and_or_b32 v8, 0x1ff, v17, v16
	v_cmp_gt_i32_e32 vcc_lo, 1, v12
	v_or_b32_e32 v2, v19, v3
	v_lshl_or_b32 v3, v12, 12, v0
	v_cvt_f32_f16_e32 v4, v5
	v_and_b32_e32 v6, 0xffff, v6
	s_wait_alu 0xfffd
	s_delay_alu instid0(VALU_DEP_3)
	v_cndmask_b32_e32 v9, v3, v2, vcc_lo
	v_cmp_ne_u32_e32 vcc_lo, 0, v8
	v_mul_f64_e32 v[2:3], s[8:9], v[14:15]
	v_cvt_f64_f32_e32 v[4:5], v4
	v_lshrrev_b32_e32 v14, 8, v17
	v_bfe_u32 v15, v17, 20, 11
	s_wait_alu 0xfffd
	v_cndmask_b32_e64 v8, 0, 1, vcc_lo
	v_and_b32_e32 v16, 7, v9
	v_lshl_or_b32 v19, v7, 16, v6
	v_sub_nc_u32_e32 v6, 0x3f1, v15
	s_delay_alu instid0(VALU_DEP_4) | instskip(NEXT) | instid1(VALU_DEP_4)
	v_and_or_b32 v14, 0xffe, v14, v8
	v_cmp_lt_i32_e32 vcc_lo, 5, v16
	v_cmp_eq_u32_e64 s0, 3, v16
	v_lshrrev_b32_e32 v8, 2, v9
	v_med3_i32 v16, v6, 0, 13
	v_or_b32_e32 v9, 0x1000, v14
	v_add_co_u32 v6, s1, v10, s2
	s_or_b32 vcc_lo, s0, vcc_lo
	v_add_co_ci_u32_e64 v7, s1, s3, v11, s1
	s_delay_alu instid0(VALU_DEP_3)
	v_lshrrev_b32_e32 v20, v16, v9
	s_wait_alu 0xfffe
	v_add_co_ci_u32_e32 v8, vcc_lo, 0, v8, vcc_lo
	v_cmp_gt_i32_e32 vcc_lo, 31, v12
	global_store_b32 v[6:7], v19, off
	v_lshlrev_b32_e32 v10, v16, v20
	v_lshrrev_b32_e32 v16, 16, v13
	s_wait_alu 0xfffd
	v_cndmask_b32_e32 v11, 0x7c00, v8, vcc_lo
	s_delay_alu instid0(VALU_DEP_3)
	v_cmp_ne_u32_e32 vcc_lo, v10, v9
	v_add_nc_u32_e32 v10, 0xfffffc10, v15
	v_mul_f16_e32 v9, v51, v16
	s_wait_alu 0xfffd
	v_cndmask_b32_e64 v8, 0, 1, vcc_lo
	v_cmp_ne_u32_e32 vcc_lo, 0, v0
	v_lshl_or_b32 v15, v10, 12, v14
	v_and_or_b32 v2, 0x1ff, v3, v2
	v_mul_f64_e32 v[4:5], s[8:9], v[4:5]
	v_or_b32_e32 v8, v20, v8
	s_wait_alu 0xfffd
	v_cndmask_b32_e64 v0, 0, 1, vcc_lo
	v_cmp_gt_i32_e32 vcc_lo, 1, v10
	v_lshrrev_b32_e32 v18, 8, v3
	v_bfe_u32 v19, v3, 20, 11
	v_fmac_f16_e32 v9, v49, v13
	v_lshl_or_b32 v0, v0, 9, 0x7c00
	s_wait_alu 0xfffd
	v_cndmask_b32_e32 v15, v15, v8, vcc_lo
	v_cmp_ne_u32_e32 vcc_lo, 0, v2
	v_mul_f16_e32 v13, v51, v13
	v_cvt_f32_f16_e32 v8, v9
	s_delay_alu instid0(VALU_DEP_4)
	v_and_b32_e32 v20, 7, v15
	s_wait_alu 0xfffd
	v_cndmask_b32_e64 v2, 0, 1, vcc_lo
	v_cmp_eq_u32_e32 vcc_lo, 0x40f, v12
	v_fma_f16 v13, v49, v16, -v13
	v_lshrrev_b32_e32 v16, 16, v1
	v_cmp_eq_u32_e64 s0, 3, v20
	v_and_or_b32 v2, 0xffe, v18, v2
	v_sub_nc_u32_e32 v18, 0x3f1, v19
	s_wait_alu 0xfffd
	v_cndmask_b32_e32 v12, v11, v0, vcc_lo
	v_cmp_lt_i32_e32 vcc_lo, 5, v20
	v_lshrrev_b32_e32 v1, 2, v15
	v_or_b32_e32 v11, 0x1000, v2
	v_med3_i32 v0, v18, 0, 13
	v_cvt_f64_f32_e32 v[8:9], v8
	s_or_b32 vcc_lo, s0, vcc_lo
	v_cvt_f32_f16_e32 v13, v13
	s_wait_alu 0xfffe
	v_add_co_ci_u32_e32 v18, vcc_lo, 0, v1, vcc_lo
	v_lshrrev_b32_e32 v15, v0, v11
	v_cmp_ne_u32_e32 vcc_lo, 0, v14
	v_and_or_b32 v12, 0x8000, v16, v12
	s_delay_alu instid0(VALU_DEP_3)
	v_lshlrev_b32_e32 v20, v0, v15
	s_wait_alu 0xfffd
	v_cndmask_b32_e64 v14, 0, 1, vcc_lo
	v_cmp_gt_i32_e32 vcc_lo, 31, v10
	v_cvt_f64_f32_e32 v[0:1], v13
	v_and_or_b32 v4, 0x1ff, v5, v4
	v_and_b32_e32 v12, 0xffff, v12
	v_lshl_or_b32 v14, v14, 9, 0x7c00
	s_wait_alu 0xfffd
	v_cndmask_b32_e32 v13, 0x7c00, v18, vcc_lo
	v_cmp_ne_u32_e32 vcc_lo, v20, v11
	v_add_nc_u32_e32 v18, 0xfffffc10, v19
	v_lshrrev_b32_e32 v19, 8, v5
	v_bfe_u32 v20, v5, 20, 11
	v_lshrrev_b32_e32 v5, 16, v5
	s_wait_alu 0xfffd
	v_cndmask_b32_e64 v11, 0, 1, vcc_lo
	v_cmp_eq_u32_e32 vcc_lo, 0x40f, v10
	v_sub_nc_u32_e32 v16, 0x3f1, v20
	s_wait_alu 0xfffd
	v_cndmask_b32_e32 v13, v13, v14, vcc_lo
	v_cmp_ne_u32_e32 vcc_lo, 0, v4
	v_or_b32_e32 v14, v15, v11
	v_lshl_or_b32 v15, v18, 12, v2
	ds_load_2addr_b32 v[10:11], v37 offset0:80 offset1:96
	v_med3_i32 v16, v16, 0, 13
	s_wait_alu 0xfffd
	v_cndmask_b32_e64 v4, 0, 1, vcc_lo
	v_cmp_gt_i32_e32 vcc_lo, 1, v18
	v_mul_f64_e32 v[8:9], s[8:9], v[8:9]
	s_delay_alu instid0(VALU_DEP_3) | instskip(SKIP_3) | instid1(VALU_DEP_2)
	v_and_or_b32 v4, 0xffe, v19, v4
	s_wait_alu 0xfffd
	v_cndmask_b32_e32 v14, v15, v14, vcc_lo
	v_lshrrev_b32_e32 v15, 16, v17
	v_and_b32_e32 v17, 7, v14
	s_delay_alu instid0(VALU_DEP_2) | instskip(SKIP_1) | instid1(VALU_DEP_3)
	v_and_or_b32 v13, 0x8000, v15, v13
	v_or_b32_e32 v15, 0x1000, v4
	v_cmp_lt_i32_e32 vcc_lo, 5, v17
	v_cmp_eq_u32_e64 s0, 3, v17
	s_delay_alu instid0(VALU_DEP_4)
	v_lshl_or_b32 v17, v13, 16, v12
	v_lshrrev_b32_e32 v12, 2, v14
	v_lshrrev_b32_e32 v13, v16, v15
	s_wait_dscnt 0x0
	v_lshrrev_b32_e32 v14, 16, v10
	s_or_b32 vcc_lo, s0, vcc_lo
	v_mul_f64_e32 v[0:1], s[8:9], v[0:1]
	s_wait_alu 0xfffe
	v_add_co_ci_u32_e32 v12, vcc_lo, 0, v12, vcc_lo
	v_add_co_u32 v6, vcc_lo, v6, s2
	s_wait_alu 0xfffd
	v_add_co_ci_u32_e32 v7, vcc_lo, s3, v7, vcc_lo
	v_lshlrev_b32_e32 v16, v16, v13
	v_cmp_gt_i32_e32 vcc_lo, 31, v18
	v_mul_f16_e32 v19, v48, v14
	global_store_b32 v[6:7], v17, off
	v_add_co_u32 v6, s1, v6, s2
	s_wait_alu 0xfffd
	v_cndmask_b32_e32 v21, 0x7c00, v12, vcc_lo
	v_cmp_ne_u32_e32 vcc_lo, v16, v15
	v_fmac_f16_e32 v19, v47, v10
	s_wait_alu 0xf1ff
	v_add_co_ci_u32_e64 v7, s1, s3, v7, s1
	v_and_or_b32 v8, 0x1ff, v9, v8
	s_wait_alu 0xfffd
	v_cndmask_b32_e64 v12, 0, 1, vcc_lo
	v_cmp_ne_u32_e32 vcc_lo, 0, v2
	v_cvt_f32_f16_e32 v16, v19
	s_delay_alu instid0(VALU_DEP_3) | instskip(SKIP_2) | instid1(VALU_DEP_3)
	v_or_b32_e32 v19, v13, v12
	s_wait_alu 0xfffd
	v_cndmask_b32_e64 v2, 0, 1, vcc_lo
	v_cvt_f64_f32_e32 v[12:13], v16
	s_delay_alu instid0(VALU_DEP_2) | instskip(SKIP_1) | instid1(VALU_DEP_1)
	v_lshl_or_b32 v2, v2, 9, 0x7c00
	v_add_nc_u32_e32 v15, 0xfffffc10, v20
	v_lshl_or_b32 v20, v15, 12, v4
	v_cmp_gt_i32_e32 vcc_lo, 1, v15
	v_and_or_b32 v0, 0x1ff, v1, v0
	s_wait_alu 0xfffd
	s_delay_alu instid0(VALU_DEP_3)
	v_cndmask_b32_e32 v16, v20, v19, vcc_lo
	v_cmp_ne_u32_e32 vcc_lo, 0, v8
	v_lshrrev_b32_e32 v19, 8, v9
	v_bfe_u32 v20, v9, 20, 11
	v_lshrrev_b32_e32 v9, 16, v9
	v_and_b32_e32 v22, 7, v16
	s_wait_alu 0xfffd
	v_cndmask_b32_e64 v8, 0, 1, vcc_lo
	v_cmp_eq_u32_e32 vcc_lo, 0x40f, v18
	v_lshrrev_b32_e32 v16, 2, v16
	v_cmp_eq_u32_e64 s0, 3, v22
	s_delay_alu instid0(VALU_DEP_4)
	v_and_or_b32 v8, 0xffe, v19, v8
	s_wait_alu 0xfffd
	v_cndmask_b32_e32 v18, v21, v2, vcc_lo
	v_sub_nc_u32_e32 v2, 0x3f1, v20
	v_cmp_lt_i32_e32 vcc_lo, 5, v22
	v_lshrrev_b32_e32 v21, 16, v3
	v_or_b32_e32 v19, 0x1000, v8
	v_mul_f16_e32 v3, v48, v10
	v_med3_i32 v2, v2, 0, 13
	s_or_b32 vcc_lo, s0, vcc_lo
	v_lshrrev_b32_e32 v10, 8, v1
	s_wait_alu 0xfffe
	v_add_co_ci_u32_e32 v16, vcc_lo, 0, v16, vcc_lo
	v_lshrrev_b32_e32 v22, v2, v19
	v_cmp_ne_u32_e32 vcc_lo, 0, v4
	v_fma_f16 v3, v47, v14, -v3
	v_add_nc_u32_e32 v20, 0xfffffc10, v20
	v_and_or_b32 v17, 0x8000, v21, v18
	v_lshlrev_b32_e32 v2, v2, v22
	s_wait_alu 0xfffd
	v_cndmask_b32_e64 v4, 0, 1, vcc_lo
	v_cmp_ne_u32_e32 vcc_lo, 0, v0
	v_lshrrev_b32_e32 v18, 16, v11
	s_delay_alu instid0(VALU_DEP_3) | instskip(SKIP_4) | instid1(VALU_DEP_3)
	v_lshl_or_b32 v4, v4, 9, 0x7c00
	s_wait_alu 0xfffd
	v_cndmask_b32_e64 v0, 0, 1, vcc_lo
	v_cmp_ne_u32_e32 vcc_lo, v2, v19
	v_bfe_u32 v19, v1, 20, 11
	v_and_or_b32 v0, 0xffe, v10, v0
	s_wait_alu 0xfffd
	v_cndmask_b32_e64 v14, 0, 1, vcc_lo
	v_cvt_f32_f16_e32 v10, v3
	v_sub_nc_u32_e32 v23, 0x3f1, v19
	v_cmp_gt_i32_e32 vcc_lo, 31, v15
	v_mul_f64_e32 v[2:3], s[8:9], v[12:13]
	v_or_b32_e32 v14, v22, v14
	v_lshl_or_b32 v22, v20, 12, v8
	v_cvt_f64_f32_e32 v[12:13], v10
	v_or_b32_e32 v10, 0x1000, v0
	v_med3_i32 v23, v23, 0, 13
	s_wait_alu 0xfffd
	v_cndmask_b32_e32 v16, 0x7c00, v16, vcc_lo
	v_cmp_gt_i32_e32 vcc_lo, 1, v20
	s_wait_alu 0xfffd
	v_cndmask_b32_e32 v14, v22, v14, vcc_lo
	v_lshrrev_b32_e32 v22, v23, v10
	v_cmp_eq_u32_e32 vcc_lo, 0x40f, v15
	s_wait_alu 0xfffd
	s_delay_alu instid0(VALU_DEP_3) | instskip(NEXT) | instid1(VALU_DEP_3)
	v_dual_cndmask_b32 v4, v16, v4 :: v_dual_and_b32 v15, 7, v14
	v_lshlrev_b32_e32 v16, v23, v22
	s_delay_alu instid0(VALU_DEP_2) | instskip(NEXT) | instid1(VALU_DEP_3)
	v_cmp_lt_i32_e32 vcc_lo, 5, v15
	v_and_or_b32 v4, 0x8000, v5, v4
	s_delay_alu instid0(VALU_DEP_3) | instskip(SKIP_2) | instid1(VALU_DEP_2)
	v_cmp_ne_u32_e64 s0, v16, v10
	v_add_nc_u32_e32 v10, 0xfffffc10, v19
	s_wait_alu 0xf1ff
	v_cndmask_b32_e64 v5, 0, 1, s0
	v_cmp_eq_u32_e64 s0, 3, v15
	v_and_b32_e32 v15, 0xffff, v17
	v_lshrrev_b32_e32 v14, 2, v14
	v_lshl_or_b32 v16, v10, 12, v0
	v_or_b32_e32 v5, v22, v5
	s_or_b32 vcc_lo, s0, vcc_lo
	v_lshl_or_b32 v17, v4, 16, v15
	s_wait_alu 0xfffe
	v_add_co_ci_u32_e32 v14, vcc_lo, 0, v14, vcc_lo
	v_cmp_gt_i32_e32 vcc_lo, 1, v10
	v_and_or_b32 v2, 0x1ff, v3, v2
	v_bfe_u32 v19, v3, 20, 11
	s_wait_alu 0xfffd
	v_cndmask_b32_e32 v15, v16, v5, vcc_lo
	v_cmp_gt_i32_e32 vcc_lo, 31, v20
	v_mul_f64_e32 v[4:5], s[8:9], v[12:13]
	v_lshrrev_b32_e32 v12, 8, v3
	v_mul_f16_e32 v13, v46, v18
	v_and_b32_e32 v16, 7, v15
	s_wait_alu 0xfffd
	v_cndmask_b32_e32 v14, 0x7c00, v14, vcc_lo
	v_cmp_ne_u32_e32 vcc_lo, 0, v8
	v_lshrrev_b32_e32 v15, 2, v15
	v_fmac_f16_e32 v13, v45, v11
	v_cmp_eq_u32_e64 s0, 3, v16
	v_mul_f16_e32 v11, v46, v11
	s_wait_alu 0xfffd
	v_cndmask_b32_e64 v8, 0, 1, vcc_lo
	v_cmp_ne_u32_e32 vcc_lo, 0, v2
	s_delay_alu instid0(VALU_DEP_3) | instskip(NEXT) | instid1(VALU_DEP_3)
	v_fma_f16 v11, v45, v18, -v11
	v_lshl_or_b32 v8, v8, 9, 0x7c00
	s_wait_alu 0xfffd
	v_cndmask_b32_e64 v2, 0, 1, vcc_lo
	v_cmp_lt_i32_e32 vcc_lo, 5, v16
	s_delay_alu instid0(VALU_DEP_2)
	v_and_or_b32 v2, 0xffe, v12, v2
	s_or_b32 vcc_lo, s0, vcc_lo
	v_sub_nc_u32_e32 v12, 0x3f1, v19
	s_wait_alu 0xfffe
	v_add_co_ci_u32_e32 v15, vcc_lo, 0, v15, vcc_lo
	v_cmp_ne_u32_e32 vcc_lo, 0, v0
	v_or_b32_e32 v16, 0x1000, v2
	v_med3_i32 v21, v12, 0, 13
	v_cvt_f32_f16_e32 v12, v13
	s_wait_alu 0xfffd
	v_cndmask_b32_e64 v0, 0, 1, vcc_lo
	v_cmp_eq_u32_e32 vcc_lo, 0x40f, v20
	v_lshrrev_b32_e32 v22, v21, v16
	v_cvt_f64_f32_e32 v[12:13], v12
	s_delay_alu instid0(VALU_DEP_4)
	v_lshl_or_b32 v0, v0, 9, 0x7c00
	s_wait_alu 0xfffd
	v_cndmask_b32_e32 v8, v14, v8, vcc_lo
	v_cmp_gt_i32_e32 vcc_lo, 31, v10
	v_and_or_b32 v4, 0x1ff, v5, v4
	s_wait_alu 0xfffd
	v_dual_cndmask_b32 v14, 0x7c00, v15 :: v_dual_lshlrev_b32 v15, v21, v22
	v_cmp_eq_u32_e32 vcc_lo, 0x40f, v10
	v_and_or_b32 v8, 0x8000, v9, v8
	s_wait_alu 0xfffd
	s_delay_alu instid0(VALU_DEP_3)
	v_cndmask_b32_e32 v10, v14, v0, vcc_lo
	v_cmp_ne_u32_e32 vcc_lo, v15, v16
	v_lshrrev_b32_e32 v15, 16, v1
	v_add_nc_u32_e32 v14, 0xfffffc10, v19
	v_bfe_u32 v19, v5, 20, 11
	s_wait_alu 0xfffd
	v_cndmask_b32_e64 v0, 0, 1, vcc_lo
	v_cmp_ne_u32_e32 vcc_lo, 0, v4
	v_lshl_or_b32 v18, v14, 12, v2
	v_sub_nc_u32_e32 v9, 0x3f1, v19
	v_and_or_b32 v15, 0x8000, v15, v10
	v_or_b32_e32 v16, v22, v0
	v_cvt_f32_f16_e32 v0, v11
	s_wait_alu 0xfffd
	v_cndmask_b32_e64 v4, 0, 1, vcc_lo
	v_cmp_gt_i32_e32 vcc_lo, 1, v14
	v_lshrrev_b32_e32 v11, 8, v5
	v_med3_i32 v21, v9, 0, 13
	v_cvt_f64_f32_e32 v[0:1], v0
	v_lshrrev_b32_e32 v5, 16, v5
	s_wait_alu 0xfffd
	v_cndmask_b32_e32 v16, v18, v16, vcc_lo
	v_and_or_b32 v4, 0xffe, v11, v4
	v_and_b32_e32 v18, 0xffff, v8
	ds_load_2addr_b32 v[8:9], v37 offset0:112 offset1:128
	v_and_b32_e32 v10, 7, v16
	v_or_b32_e32 v20, 0x1000, v4
	s_delay_alu instid0(VALU_DEP_2)
	v_cmp_lt_i32_e32 vcc_lo, 5, v10
	v_cmp_eq_u32_e64 s0, 3, v10
	v_mul_f64_e32 v[10:11], s[8:9], v[12:13]
	v_lshrrev_b32_e32 v13, 2, v16
	v_lshrrev_b32_e32 v12, v21, v20
	v_lshl_or_b32 v16, v15, 16, v18
	s_or_b32 vcc_lo, s0, vcc_lo
	v_add_nc_u32_e32 v18, 0xfffffc10, v19
	s_wait_alu 0xfffe
	v_add_co_ci_u32_e32 v13, vcc_lo, 0, v13, vcc_lo
	v_lshlrev_b32_e32 v15, v21, v12
	v_cmp_ne_u32_e32 vcc_lo, 0, v2
	s_wait_dscnt 0x0
	v_lshrrev_b32_e32 v19, 16, v8
	s_wait_alu 0xfffd
	v_cndmask_b32_e64 v2, 0, 1, vcc_lo
	v_cmp_ne_u32_e32 vcc_lo, v15, v20
	s_delay_alu instid0(VALU_DEP_3) | instskip(NEXT) | instid1(VALU_DEP_3)
	v_mul_f16_e32 v20, v44, v19
	v_lshl_or_b32 v2, v2, 9, 0x7c00
	s_wait_alu 0xfffd
	v_cndmask_b32_e64 v15, 0, 1, vcc_lo
	v_cmp_gt_i32_e32 vcc_lo, 31, v14
	v_fmac_f16_e32 v20, v43, v8
	v_mul_f16_e32 v8, v44, v8
	v_mul_f64_e32 v[0:1], s[8:9], v[0:1]
	v_or_b32_e32 v12, v12, v15
	s_wait_alu 0xfffd
	v_cndmask_b32_e32 v13, 0x7c00, v13, vcc_lo
	v_lshl_or_b32 v15, v18, 12, v4
	v_cmp_gt_i32_e32 vcc_lo, 1, v18
	v_cvt_f32_f16_e32 v20, v20
	v_fma_f16 v8, v43, v19, -v8
	s_wait_alu 0xfffd
	v_cndmask_b32_e32 v15, v15, v12, vcc_lo
	v_cmp_eq_u32_e32 vcc_lo, 0x40f, v14
	s_delay_alu instid0(VALU_DEP_3) | instskip(SKIP_1) | instid1(VALU_DEP_4)
	v_cvt_f32_f16_e32 v8, v8
	v_and_or_b32 v10, 0x1ff, v11, v10
	v_and_b32_e32 v14, 7, v15
	s_delay_alu instid0(VALU_DEP_2) | instskip(NEXT) | instid1(VALU_DEP_2)
	v_cmp_ne_u32_e64 s1, 0, v10
	v_cmp_eq_u32_e64 s0, 3, v14
	s_wait_alu 0xf1ff
	s_delay_alu instid0(VALU_DEP_2)
	v_cndmask_b32_e64 v10, 0, 1, s1
	v_bfe_u32 v23, v1, 20, 11
	s_wait_alu 0xfffd
	v_cndmask_b32_e32 v12, v13, v2, vcc_lo
	v_add_co_u32 v2, vcc_lo, v6, s2
	v_lshrrev_b32_e32 v13, 16, v3
	s_wait_alu 0xfffd
	v_add_co_ci_u32_e32 v3, vcc_lo, s3, v7, vcc_lo
	s_clause 0x1
	global_store_b32 v[6:7], v17, off
	global_store_b32 v[2:3], v16, off
	v_add_nc_u32_e32 v17, 0xfffffc10, v23
	v_and_or_b32 v21, 0x8000, v13, v12
	v_cvt_f64_f32_e32 v[12:13], v20
	v_cmp_lt_i32_e32 vcc_lo, 5, v14
	v_lshrrev_b32_e32 v14, 2, v15
	v_lshrrev_b32_e32 v15, 8, v11
	v_bfe_u32 v20, v11, 20, 11
	v_and_or_b32 v0, 0x1ff, v1, v0
	s_or_b32 vcc_lo, s0, vcc_lo
	v_lshrrev_b32_e32 v11, 16, v11
	s_wait_alu 0xfffe
	v_add_co_ci_u32_e32 v14, vcc_lo, 0, v14, vcc_lo
	v_and_or_b32 v10, 0xffe, v15, v10
	v_sub_nc_u32_e32 v15, 0x3f1, v20
	v_cmp_ne_u32_e32 vcc_lo, 0, v4
	v_add_nc_u32_e32 v20, 0xfffffc10, v20
	s_delay_alu instid0(VALU_DEP_4) | instskip(NEXT) | instid1(VALU_DEP_4)
	v_or_b32_e32 v22, 0x1000, v10
	v_med3_i32 v15, v15, 0, 13
	s_wait_alu 0xfffd
	v_cndmask_b32_e64 v4, 0, 1, vcc_lo
	v_cmp_gt_i32_e32 vcc_lo, 31, v18
	s_delay_alu instid0(VALU_DEP_3) | instskip(NEXT) | instid1(VALU_DEP_3)
	v_lshrrev_b32_e32 v19, v15, v22
	v_lshl_or_b32 v4, v4, 9, 0x7c00
	s_wait_alu 0xfffd
	v_cndmask_b32_e32 v14, 0x7c00, v14, vcc_lo
	v_cmp_eq_u32_e32 vcc_lo, 0x40f, v18
	v_lshlrev_b32_e32 v18, v15, v19
	s_wait_alu 0xfffd
	s_delay_alu instid0(VALU_DEP_3) | instskip(SKIP_3) | instid1(VALU_DEP_4)
	v_cndmask_b32_e32 v4, v14, v4, vcc_lo
	v_cmp_ne_u32_e32 vcc_lo, 0, v0
	v_cvt_f64_f32_e32 v[14:15], v8
	v_lshrrev_b32_e32 v8, 8, v1
	v_and_or_b32 v4, 0x8000, v5, v4
	s_wait_alu 0xfffd
	v_cndmask_b32_e64 v0, 0, 1, vcc_lo
	v_cmp_ne_u32_e32 vcc_lo, v18, v22
	v_and_b32_e32 v5, 0xffff, v21
	v_mul_f64_e32 v[12:13], s[8:9], v[12:13]
	s_delay_alu instid0(VALU_DEP_4)
	v_and_or_b32 v0, 0xffe, v8, v0
	s_wait_alu 0xfffd
	v_cndmask_b32_e64 v18, 0, 1, vcc_lo
	v_sub_nc_u32_e32 v8, 0x3f1, v23
	v_cmp_gt_i32_e32 vcc_lo, 1, v20
	v_lshl_or_b32 v16, v4, 16, v5
	v_or_b32_e32 v22, 0x1000, v0
	v_or_b32_e32 v18, v19, v18
	v_lshl_or_b32 v19, v20, 12, v10
	v_med3_i32 v8, v8, 0, 13
	s_wait_alu 0xfffd
	s_delay_alu instid0(VALU_DEP_2) | instskip(NEXT) | instid1(VALU_DEP_2)
	v_cndmask_b32_e32 v18, v19, v18, vcc_lo
	v_lshrrev_b32_e32 v19, v8, v22
	v_add_co_u32 v2, vcc_lo, v2, s2
	s_wait_alu 0xfffd
	v_add_co_ci_u32_e32 v3, vcc_lo, s3, v3, vcc_lo
	s_delay_alu instid0(VALU_DEP_3)
	v_lshlrev_b32_e32 v5, v8, v19
	v_and_b32_e32 v4, 7, v18
	v_lshrrev_b32_e32 v7, 2, v18
	v_lshrrev_b32_e32 v8, 16, v9
	global_store_b32 v[2:3], v16, off
	v_cmp_ne_u32_e64 s0, v5, v22
	v_cmp_lt_i32_e32 vcc_lo, 5, v4
	v_mul_f16_e32 v6, v42, v8
	s_wait_alu 0xf1ff
	s_delay_alu instid0(VALU_DEP_3) | instskip(SKIP_1) | instid1(VALU_DEP_3)
	v_cndmask_b32_e64 v5, 0, 1, s0
	v_cmp_eq_u32_e64 s0, 3, v4
	v_fmac_f16_e32 v6, v41, v9
	v_mul_f16_e32 v9, v42, v9
	s_delay_alu instid0(VALU_DEP_4) | instskip(NEXT) | instid1(VALU_DEP_4)
	v_or_b32_e32 v18, v19, v5
	s_or_b32 vcc_lo, s0, vcc_lo
	v_lshl_or_b32 v19, v17, 12, v0
	s_wait_alu 0xfffe
	v_add_co_ci_u32_e32 v7, vcc_lo, 0, v7, vcc_lo
	v_cmp_gt_i32_e32 vcc_lo, 1, v17
	v_mul_f64_e32 v[4:5], s[8:9], v[14:15]
	v_and_or_b32 v12, 0x1ff, v13, v12
	v_cvt_f32_f16_e32 v6, v6
	v_bfe_u32 v21, v13, 20, 11
	s_wait_alu 0xfffd
	v_cndmask_b32_e32 v14, v19, v18, vcc_lo
	v_cmp_gt_i32_e32 vcc_lo, 31, v20
	v_lshrrev_b32_e32 v19, 8, v13
	v_fma_f16 v8, v41, v8, -v9
	v_lshrrev_b32_e32 v13, 16, v13
	s_wait_alu 0xfffd
	v_dual_cndmask_b32 v15, 0x7c00, v7 :: v_dual_and_b32 v18, 7, v14
	v_cmp_ne_u32_e32 vcc_lo, 0, v12
	v_cvt_f64_f32_e32 v[6:7], v6
	v_lshrrev_b32_e32 v14, 2, v14
	s_delay_alu instid0(VALU_DEP_4) | instskip(SKIP_4) | instid1(VALU_DEP_3)
	v_cmp_eq_u32_e64 s0, 3, v18
	v_cvt_f32_f16_e32 v8, v8
	s_wait_alu 0xfffd
	v_cndmask_b32_e64 v12, 0, 1, vcc_lo
	v_cmp_ne_u32_e32 vcc_lo, 0, v10
	v_cvt_f64_f32_e32 v[8:9], v8
	s_delay_alu instid0(VALU_DEP_3)
	v_and_or_b32 v12, 0xffe, v19, v12
	s_wait_alu 0xfffd
	v_cndmask_b32_e64 v10, 0, 1, vcc_lo
	v_cmp_lt_i32_e32 vcc_lo, 5, v18
	v_sub_nc_u32_e32 v19, 0x3f1, v21
	v_add_nc_u32_e32 v21, 0xfffffc10, v21
	v_or_b32_e32 v18, 0x1000, v12
	v_lshl_or_b32 v10, v10, 9, 0x7c00
	s_or_b32 vcc_lo, s0, vcc_lo
	v_med3_i32 v19, v19, 0, 13
	s_wait_alu 0xfffe
	v_add_co_ci_u32_e32 v14, vcc_lo, 0, v14, vcc_lo
	v_cmp_eq_u32_e32 vcc_lo, 0x40f, v20
	s_wait_alu 0xfffd
	v_cndmask_b32_e32 v10, v15, v10, vcc_lo
	v_lshrrev_b32_e32 v15, v19, v18
	v_cmp_gt_i32_e32 vcc_lo, 31, v17
	v_and_or_b32 v4, 0x1ff, v5, v4
	v_bfe_u32 v20, v5, 20, 11
	v_and_or_b32 v10, 0x8000, v11, v10
	s_wait_alu 0xfffd
	v_dual_cndmask_b32 v14, 0x7c00, v14 :: v_dual_lshlrev_b32 v19, v19, v15
	v_cmp_ne_u32_e32 vcc_lo, 0, v0
	s_wait_alu 0xfffd
	v_cndmask_b32_e64 v0, 0, 1, vcc_lo
	s_delay_alu instid0(VALU_DEP_3) | instskip(SKIP_2) | instid1(VALU_DEP_4)
	v_cmp_ne_u32_e32 vcc_lo, v19, v18
	v_lshrrev_b32_e32 v19, 8, v5
	v_mul_f64_e32 v[6:7], s[8:9], v[6:7]
	v_lshl_or_b32 v0, v0, 9, 0x7c00
	s_wait_alu 0xfffd
	v_cndmask_b32_e64 v18, 0, 1, vcc_lo
	v_cmp_ne_u32_e32 vcc_lo, 0, v4
	v_mul_f64_e32 v[8:9], s[8:9], v[8:9]
	s_delay_alu instid0(VALU_DEP_3)
	v_or_b32_e32 v15, v15, v18
	s_wait_alu 0xfffd
	v_cndmask_b32_e64 v4, 0, 1, vcc_lo
	v_cmp_eq_u32_e32 vcc_lo, 0x40f, v17
	v_lshl_or_b32 v18, v21, 12, v12
	v_lshrrev_b32_e32 v17, 16, v1
	s_delay_alu instid0(VALU_DEP_4)
	v_and_or_b32 v4, 0xffe, v19, v4
	v_sub_nc_u32_e32 v19, 0x3f1, v20
	s_wait_alu 0xfffd
	v_cndmask_b32_e32 v14, v14, v0, vcc_lo
	v_cmp_gt_i32_e32 vcc_lo, 1, v21
	ds_load_2addr_b32 v[0:1], v37 offset0:144 offset1:160
	v_or_b32_e32 v22, 0x1000, v4
	v_med3_i32 v19, v19, 0, 13
	v_and_or_b32 v14, 0x8000, v17, v14
	v_and_b32_e32 v17, 0xffff, v10
	s_wait_alu 0xfffd
	v_cndmask_b32_e32 v15, v18, v15, vcc_lo
	v_lshrrev_b32_e32 v18, v19, v22
	s_delay_alu instid0(VALU_DEP_3) | instskip(NEXT) | instid1(VALU_DEP_3)
	v_lshl_or_b32 v17, v14, 16, v17
	v_and_b32_e32 v11, 7, v15
	v_lshrrev_b32_e32 v10, 2, v15
	s_delay_alu instid0(VALU_DEP_4) | instskip(SKIP_1) | instid1(VALU_DEP_4)
	v_lshlrev_b32_e32 v16, v19, v18
	v_add_nc_u32_e32 v15, 0xfffffc10, v20
	v_cmp_lt_i32_e32 vcc_lo, 5, v11
	v_cmp_eq_u32_e64 s0, 3, v11
	s_delay_alu instid0(VALU_DEP_4) | instskip(NEXT) | instid1(VALU_DEP_4)
	v_cmp_ne_u32_e64 s1, v16, v22
	v_lshl_or_b32 v16, v15, 12, v4
	v_and_or_b32 v6, 0x1ff, v7, v6
	s_delay_alu instid0(VALU_DEP_4) | instskip(NEXT) | instid1(VALU_DEP_3)
	s_or_b32 vcc_lo, s0, vcc_lo
	v_cndmask_b32_e64 v11, 0, 1, s1
	s_wait_alu 0xfffe
	v_add_co_ci_u32_e32 v10, vcc_lo, 0, v10, vcc_lo
	v_cmp_ne_u32_e32 vcc_lo, 0, v12
	v_lshrrev_b32_e32 v20, 8, v7
	v_or_b32_e32 v11, v18, v11
	s_wait_dscnt 0x0
	v_lshrrev_b32_e32 v18, 16, v0
	v_bfe_u32 v22, v7, 20, 11
	s_wait_alu 0xfffd
	v_cndmask_b32_e64 v12, 0, 1, vcc_lo
	v_cmp_gt_i32_e32 vcc_lo, 1, v15
	v_cmp_eq_u32_e64 s1, 0x40f, v21
	v_lshrrev_b32_e32 v7, 16, v7
	s_delay_alu instid0(VALU_DEP_4) | instskip(SKIP_4) | instid1(VALU_DEP_2)
	v_lshl_or_b32 v12, v12, 9, 0x7c00
	s_wait_alu 0xfffd
	v_cndmask_b32_e32 v16, v16, v11, vcc_lo
	v_mul_f16_e32 v11, v40, v18
	v_cmp_gt_i32_e32 vcc_lo, 31, v21
	v_fmac_f16_e32 v11, v39, v0
	s_wait_alu 0xfffd
	v_cndmask_b32_e32 v19, 0x7c00, v10, vcc_lo
	v_cmp_ne_u32_e32 vcc_lo, 0, v6
	v_and_b32_e32 v10, 7, v16
	v_lshrrev_b32_e32 v16, 2, v16
	v_cvt_f32_f16_e32 v11, v11
	s_wait_alu 0xf1ff
	v_cndmask_b32_e64 v12, v19, v12, s1
	s_wait_alu 0xfffd
	v_cndmask_b32_e64 v6, 0, 1, vcc_lo
	v_cmp_lt_i32_e32 vcc_lo, 5, v10
	v_cmp_eq_u32_e64 s0, 3, v10
	v_cvt_f64_f32_e32 v[10:11], v11
	v_mul_f16_e32 v0, v40, v0
	v_and_or_b32 v6, 0xffe, v20, v6
	v_sub_nc_u32_e32 v20, 0x3f1, v22
	s_or_b32 vcc_lo, s0, vcc_lo
	v_and_or_b32 v23, 0x8000, v13, v12
	s_wait_alu 0xfffe
	v_add_co_ci_u32_e32 v16, vcc_lo, 0, v16, vcc_lo
	v_or_b32_e32 v19, 0x1000, v6
	v_med3_i32 v20, v20, 0, 13
	v_cmp_ne_u32_e32 vcc_lo, 0, v4
	v_fma_f16 v0, v39, v18, -v0
	v_lshrrev_b32_e32 v18, 8, v9
	v_and_b32_e32 v14, 0xffff, v23
	v_lshrrev_b32_e32 v21, v20, v19
	s_wait_alu 0xfffd
	v_cndmask_b32_e64 v4, 0, 1, vcc_lo
	v_cmp_gt_i32_e32 vcc_lo, 31, v15
	v_cvt_f32_f16_e32 v0, v0
	v_lshlrev_b32_e32 v12, v20, v21
	s_delay_alu instid0(VALU_DEP_4)
	v_lshl_or_b32 v4, v4, 9, 0x7c00
	s_wait_alu 0xfffd
	v_cndmask_b32_e32 v16, 0x7c00, v16, vcc_lo
	v_cmp_eq_u32_e32 vcc_lo, 0x40f, v15
	v_lshrrev_b32_e32 v20, 16, v5
	s_wait_alu 0xfffd
	s_delay_alu instid0(VALU_DEP_3)
	v_cndmask_b32_e32 v15, v16, v4, vcc_lo
	v_and_or_b32 v4, 0x1ff, v9, v8
	v_cmp_ne_u32_e32 vcc_lo, v12, v19
	v_cvt_f64_f32_e32 v[12:13], v0
	v_add_nc_u32_e32 v16, 0xfffffc10, v22
	v_bfe_u32 v19, v9, 20, 11
	v_lshrrev_b32_e32 v22, 16, v1
	s_wait_alu 0xfffd
	v_cndmask_b32_e64 v8, 0, 1, vcc_lo
	v_cmp_ne_u32_e32 vcc_lo, 0, v4
	s_delay_alu instid0(VALU_DEP_2)
	v_or_b32_e32 v0, v21, v8
	s_wait_alu 0xfffd
	v_cndmask_b32_e64 v4, 0, 1, vcc_lo
	v_lshl_or_b32 v8, v16, 12, v6
	v_sub_nc_u32_e32 v21, 0x3f1, v19
	v_cmp_gt_i32_e32 vcc_lo, 1, v16
	v_add_nc_u32_e32 v19, 0xfffffc10, v19
	v_and_or_b32 v18, 0xffe, v18, v4
	v_mul_f64_e32 v[4:5], s[8:9], v[10:11]
	v_med3_i32 v10, v21, 0, 13
	s_wait_alu 0xfffd
	v_cndmask_b32_e32 v0, v8, v0, vcc_lo
	v_and_or_b32 v11, 0x8000, v20, v15
	v_or_b32_e32 v8, 0x1000, v18
	v_add_co_u32 v2, vcc_lo, v2, s2
	s_delay_alu instid0(VALU_DEP_4)
	v_and_b32_e32 v15, 7, v0
	s_wait_alu 0xfffd
	v_add_co_ci_u32_e32 v3, vcc_lo, s3, v3, vcc_lo
	v_lshrrev_b32_e32 v20, v10, v8
	v_lshrrev_b32_e32 v0, 2, v0
	v_cmp_lt_i32_e32 vcc_lo, 5, v15
	v_cmp_eq_u32_e64 s0, 3, v15
	v_lshl_or_b32 v21, v11, 16, v14
	v_lshlrev_b32_e32 v10, v10, v20
	v_mul_f16_e32 v14, v38, v22
	v_lshl_or_b32 v15, v19, 12, v18
	s_or_b32 vcc_lo, s0, vcc_lo
	s_delay_alu instid0(VALU_DEP_3)
	v_cmp_ne_u32_e64 s1, v10, v8
	s_wait_alu 0xfffe
	v_add_co_ci_u32_e32 v0, vcc_lo, 0, v0, vcc_lo
	v_cmp_ne_u32_e32 vcc_lo, 0, v6
	v_fmac_f16_e32 v14, v36, v1
	s_wait_alu 0xf1ff
	v_cndmask_b32_e64 v8, 0, 1, s1
	v_mul_f64_e32 v[10:11], s[8:9], v[12:13]
	s_wait_alu 0xfffd
	v_cndmask_b32_e64 v6, 0, 1, vcc_lo
	v_cmp_gt_i32_e32 vcc_lo, 1, v19
	v_or_b32_e32 v8, v20, v8
	v_cvt_f32_f16_e32 v12, v14
	s_delay_alu instid0(VALU_DEP_4) | instskip(SKIP_1) | instid1(VALU_DEP_3)
	v_lshl_or_b32 v6, v6, 9, 0x7c00
	s_wait_alu 0xfffd
	v_cndmask_b32_e32 v8, v15, v8, vcc_lo
	v_cmp_gt_i32_e32 vcc_lo, 31, v16
	v_cvt_f64_f32_e32 v[12:13], v12
	v_and_or_b32 v4, 0x1ff, v5, v4
	s_delay_alu instid0(VALU_DEP_4)
	v_and_b32_e32 v20, 7, v8
	s_wait_alu 0xfffd
	v_cndmask_b32_e32 v0, 0x7c00, v0, vcc_lo
	v_add_co_u32 v14, vcc_lo, v2, s2
	s_wait_alu 0xfffd
	v_add_co_ci_u32_e32 v15, vcc_lo, s3, v3, vcc_lo
	v_cmp_eq_u32_e32 vcc_lo, 0x40f, v16
	v_cmp_ne_u32_e64 s0, 0, v4
	v_lshrrev_b32_e32 v8, 2, v8
	v_bfe_u32 v16, v5, 20, 11
	s_wait_alu 0xfffd
	v_cndmask_b32_e32 v0, v0, v6, vcc_lo
	v_cmp_lt_i32_e32 vcc_lo, 5, v20
	s_wait_alu 0xf1ff
	v_cndmask_b32_e64 v4, 0, 1, s0
	v_cmp_eq_u32_e64 s0, 3, v20
	v_lshrrev_b32_e32 v6, 8, v5
	v_and_or_b32 v23, 0x8000, v7, v0
	v_mul_f16_e32 v7, v38, v1
	v_lshrrev_b32_e32 v5, 16, v5
	s_or_b32 vcc_lo, s0, vcc_lo
	v_and_or_b32 v4, 0xffe, v6, v4
	s_wait_alu 0xfffe
	v_add_co_ci_u32_e32 v8, vcc_lo, 0, v8, vcc_lo
	v_sub_nc_u32_e32 v6, 0x3f1, v16
	v_cmp_ne_u32_e32 vcc_lo, 0, v18
	v_or_b32_e32 v20, 0x1000, v4
	v_and_or_b32 v0, 0x1ff, v11, v10
	v_fma_f16 v7, v36, v22, -v7
	v_med3_i32 v6, v6, 0, 13
	s_wait_alu 0xfffd
	v_cndmask_b32_e64 v18, 0, 1, vcc_lo
	v_cmp_gt_i32_e32 vcc_lo, 31, v19
	v_add_nc_u32_e32 v16, 0xfffffc10, v16
	v_lshrrev_b32_e32 v24, v6, v20
	s_delay_alu instid0(VALU_DEP_4)
	v_lshl_or_b32 v18, v18, 9, 0x7c00
	s_wait_alu 0xfffd
	v_cndmask_b32_e32 v8, 0x7c00, v8, vcc_lo
	v_cmp_eq_u32_e32 vcc_lo, 0x40f, v19
	v_bfe_u32 v19, v11, 20, 11
	v_lshlrev_b32_e32 v6, v6, v24
	v_lshl_or_b32 v22, v16, 12, v4
	v_cmp_eq_u32_e64 s1, 0x40f, v16
	s_wait_alu 0xfffd
	v_cndmask_b32_e32 v10, v8, v18, vcc_lo
	v_cmp_ne_u32_e32 vcc_lo, 0, v0
	v_lshrrev_b32_e32 v18, 16, v9
	v_lshrrev_b32_e32 v9, 8, v11
	v_mul_f64_e32 v[0:1], s[8:9], v[12:13]
	v_sub_nc_u32_e32 v13, 0x3f1, v19
	s_wait_alu 0xfffd
	v_cndmask_b32_e64 v8, 0, 1, vcc_lo
	v_cmp_ne_u32_e32 vcc_lo, v6, v20
	v_and_or_b32 v10, 0x8000, v18, v10
	v_and_b32_e32 v18, 0xffff, v23
	v_med3_i32 v13, v13, 0, 13
	v_and_or_b32 v20, 0xffe, v9, v8
	s_wait_alu 0xfffd
	v_cndmask_b32_e64 v12, 0, 1, vcc_lo
	v_cvt_f32_f16_e32 v8, v7
	ds_load_2addr_b32 v[6:7], v37 offset0:176 offset1:192
	v_cmp_gt_i32_e32 vcc_lo, 1, v16
	global_store_b32 v[2:3], v17, off
	global_store_b32 v[14:15], v21, off
	v_or_b32_e32 v12, v24, v12
	v_or_b32_e32 v24, 0x1000, v20
	v_cvt_f64_f32_e32 v[8:9], v8
	v_lshl_or_b32 v17, v10, 16, v18
	v_lshrrev_b32_e32 v11, 16, v11
	s_wait_alu 0xfffd
	v_cndmask_b32_e32 v12, v22, v12, vcc_lo
	v_lshrrev_b32_e32 v22, v13, v24
	v_add_co_u32 v2, vcc_lo, v14, s2
	s_wait_alu 0xfffd
	v_add_co_ci_u32_e32 v3, vcc_lo, s3, v15, vcc_lo
	s_delay_alu instid0(VALU_DEP_3) | instskip(SKIP_2) | instid1(VALU_DEP_3)
	v_lshlrev_b32_e32 v13, v13, v22
	v_and_b32_e32 v10, 7, v12
	v_add_nc_u32_e32 v15, 0xfffffc10, v19
	v_cmp_ne_u32_e64 s0, v13, v24
	s_wait_dscnt 0x0
	v_lshrrev_b32_e32 v14, 16, v6
	v_cmp_lt_i32_e32 vcc_lo, 5, v10
	s_wait_alu 0xf1ff
	v_cndmask_b32_e64 v13, 0, 1, s0
	s_delay_alu instid0(VALU_DEP_3)
	v_mul_f16_e32 v18, v35, v14
	v_cmp_eq_u32_e64 s0, 3, v10
	v_lshrrev_b32_e32 v10, 2, v12
	v_and_or_b32 v0, 0x1ff, v1, v0
	v_or_b32_e32 v12, v22, v13
	v_fmac_f16_e32 v18, v34, v6
	s_or_b32 vcc_lo, s0, vcc_lo
	v_lshl_or_b32 v13, v15, 12, v20
	s_wait_alu 0xfffe
	v_add_co_ci_u32_e32 v10, vcc_lo, 0, v10, vcc_lo
	v_cmp_gt_i32_e32 vcc_lo, 1, v15
	v_cvt_f32_f16_e32 v18, v18
	v_bfe_u32 v21, v1, 20, 11
	v_mul_f16_e32 v6, v35, v6
	s_wait_alu 0xfffd
	v_cndmask_b32_e32 v19, v13, v12, vcc_lo
	v_cmp_ne_u32_e32 vcc_lo, 0, v0
	v_cvt_f64_f32_e32 v[12:13], v18
	v_mul_f64_e32 v[8:9], s[8:9], v[8:9]
	v_lshrrev_b32_e32 v18, 8, v1
	v_and_b32_e32 v22, 7, v19
	s_wait_alu 0xfffd
	v_cndmask_b32_e64 v0, 0, 1, vcc_lo
	v_cmp_ne_u32_e32 vcc_lo, 0, v4
	v_lshrrev_b32_e32 v19, 2, v19
	v_fma_f16 v6, v34, v14, -v6
	v_cmp_eq_u32_e64 s0, 3, v22
	v_and_or_b32 v0, 0xffe, v18, v0
	s_wait_alu 0xfffd
	v_cndmask_b32_e64 v4, 0, 1, vcc_lo
	v_cmp_gt_i32_e32 vcc_lo, 31, v16
	v_sub_nc_u32_e32 v18, 0x3f1, v21
	v_add_nc_u32_e32 v21, 0xfffffc10, v21
	v_or_b32_e32 v23, 0x1000, v0
	v_lshl_or_b32 v4, v4, 9, 0x7c00
	s_wait_alu 0xfffd
	v_cndmask_b32_e32 v10, 0x7c00, v10, vcc_lo
	v_cmp_lt_i32_e32 vcc_lo, 5, v22
	v_med3_i32 v18, v18, 0, 13
	v_cvt_f32_f16_e32 v6, v6
	s_delay_alu instid0(VALU_DEP_4) | instskip(SKIP_1) | instid1(VALU_DEP_3)
	v_cndmask_b32_e64 v4, v10, v4, s1
	s_or_b32 vcc_lo, s0, vcc_lo
	v_lshrrev_b32_e32 v10, v18, v23
	s_wait_alu 0xfffe
	v_add_co_ci_u32_e32 v16, vcc_lo, 0, v19, vcc_lo
	v_cmp_ne_u32_e32 vcc_lo, 0, v20
	v_and_or_b32 v20, 0x8000, v5, v4
	v_lshlrev_b32_e32 v18, v18, v10
	s_wait_alu 0xfffd
	v_cndmask_b32_e64 v19, 0, 1, vcc_lo
	v_cmp_gt_i32_e32 vcc_lo, 31, v15
	s_delay_alu instid0(VALU_DEP_2)
	v_lshl_or_b32 v19, v19, 9, 0x7c00
	s_wait_alu 0xfffd
	v_cndmask_b32_e32 v16, 0x7c00, v16, vcc_lo
	v_cmp_ne_u32_e32 vcc_lo, v18, v23
	v_mul_f64_e32 v[4:5], s[8:9], v[12:13]
	v_lshl_or_b32 v12, v21, 12, v0
	v_and_or_b32 v8, 0x1ff, v9, v8
	v_lshrrev_b32_e32 v13, 8, v9
	s_wait_alu 0xfffd
	v_cndmask_b32_e64 v18, 0, 1, vcc_lo
	v_cmp_eq_u32_e32 vcc_lo, 0x40f, v15
	v_bfe_u32 v14, v9, 20, 11
	s_delay_alu instid0(VALU_DEP_3) | instskip(SKIP_4) | instid1(VALU_DEP_3)
	v_or_b32_e32 v10, v10, v18
	s_wait_alu 0xfffd
	v_cndmask_b32_e32 v15, v16, v19, vcc_lo
	v_cmp_gt_i32_e32 vcc_lo, 1, v21
	v_lshrrev_b32_e32 v18, 16, v7
	v_and_or_b32 v15, 0x8000, v11, v15
	s_wait_alu 0xfffd
	v_cndmask_b32_e32 v12, v12, v10, vcc_lo
	v_cmp_ne_u32_e32 vcc_lo, 0, v8
	v_cvt_f64_f32_e32 v[10:11], v6
	v_sub_nc_u32_e32 v6, 0x3f1, v14
	v_add_nc_u32_e32 v14, 0xfffffc10, v14
	v_and_b32_e32 v16, 7, v12
	s_wait_alu 0xfffd
	v_cndmask_b32_e64 v8, 0, 1, vcc_lo
	v_lshrrev_b32_e32 v12, 2, v12
	v_med3_i32 v6, v6, 0, 13
	v_cmp_lt_i32_e32 vcc_lo, 5, v16
	s_delay_alu instid0(VALU_DEP_4) | instskip(SKIP_3) | instid1(VALU_DEP_4)
	v_and_or_b32 v8, 0xffe, v13, v8
	v_cmp_eq_u32_e64 s0, 3, v16
	v_and_b32_e32 v13, 0xffff, v20
	v_mul_f16_e32 v20, v33, v18
	v_or_b32_e32 v19, 0x1000, v8
	s_delay_alu instid0(VALU_DEP_4) | instskip(NEXT) | instid1(VALU_DEP_3)
	s_or_b32 vcc_lo, s0, vcc_lo
	v_lshl_or_b32 v15, v15, 16, v13
	s_wait_alu 0xfffe
	v_add_co_ci_u32_e32 v12, vcc_lo, 0, v12, vcc_lo
	v_lshrrev_b32_e32 v16, v6, v19
	v_fmac_f16_e32 v20, v32, v7
	v_cmp_ne_u32_e32 vcc_lo, 0, v0
	v_and_or_b32 v4, 0x1ff, v5, v4
	v_mul_f16_e32 v7, v33, v7
	v_lshlrev_b32_e32 v6, v6, v16
	v_cvt_f32_f16_e32 v13, v20
	s_wait_alu 0xfffd
	v_cndmask_b32_e64 v0, 0, 1, vcc_lo
	v_cmp_gt_i32_e32 vcc_lo, 31, v21
	v_bfe_u32 v22, v5, 20, 11
	v_fma_f16 v18, v32, v18, -v7
	v_lshl_or_b32 v23, v14, 12, v8
	v_lshl_or_b32 v0, v0, 9, 0x7c00
	s_wait_alu 0xfffd
	v_cndmask_b32_e32 v20, 0x7c00, v12, vcc_lo
	v_cvt_f64_f32_e32 v[12:13], v13
	v_cmp_ne_u32_e32 vcc_lo, v6, v19
	v_lshrrev_b32_e32 v19, 8, v5
	v_lshrrev_b32_e32 v5, 16, v5
	s_wait_alu 0xfffd
	v_cndmask_b32_e64 v6, 0, 1, vcc_lo
	v_cmp_ne_u32_e32 vcc_lo, 0, v4
	s_delay_alu instid0(VALU_DEP_2)
	v_or_b32_e32 v16, v16, v6
	s_wait_alu 0xfffd
	v_cndmask_b32_e64 v4, 0, 1, vcc_lo
	v_cmp_gt_i32_e32 vcc_lo, 1, v14
	v_mul_f64_e32 v[6:7], s[8:9], v[10:11]
	v_sub_nc_u32_e32 v10, 0x3f1, v22
	v_cvt_f32_f16_e32 v11, v18
	v_and_or_b32 v4, 0xffe, v19, v4
	s_wait_alu 0xfffd
	v_cndmask_b32_e32 v16, v23, v16, vcc_lo
	v_cmp_eq_u32_e32 vcc_lo, 0x40f, v21
	v_med3_i32 v19, v10, 0, 13
	v_cvt_f64_f32_e32 v[10:11], v11
	v_or_b32_e32 v18, 0x1000, v4
	v_and_b32_e32 v23, 7, v16
	s_wait_alu 0xfffd
	v_cndmask_b32_e32 v20, v20, v0, vcc_lo
	v_add_co_u32 v0, vcc_lo, v2, s2
	v_lshrrev_b32_e32 v24, v19, v18
	v_lshrrev_b32_e32 v21, 16, v1
	s_wait_alu 0xfffd
	v_add_co_ci_u32_e32 v1, vcc_lo, s3, v3, vcc_lo
	v_cmp_lt_i32_e32 vcc_lo, 5, v23
	v_cmp_eq_u32_e64 s0, 3, v23
	v_lshrrev_b32_e32 v16, 2, v16
	v_lshlrev_b32_e32 v19, v19, v24
	v_and_or_b32 v20, 0x8000, v21, v20
	s_delay_alu instid0(VALU_DEP_4)
	s_or_b32 vcc_lo, s0, vcc_lo
	v_mul_f64_e32 v[12:13], s[8:9], v[12:13]
	s_wait_alu 0xfffe
	v_add_co_ci_u32_e32 v16, vcc_lo, 0, v16, vcc_lo
	v_cmp_ne_u32_e64 s1, v19, v18
	v_cmp_ne_u32_e32 vcc_lo, 0, v8
	v_add_nc_u32_e32 v19, 0xfffffc10, v22
	s_wait_alu 0xf1ff
	s_delay_alu instid0(VALU_DEP_3)
	v_cndmask_b32_e64 v18, 0, 1, s1
	s_wait_alu 0xfffd
	v_cndmask_b32_e64 v8, 0, 1, vcc_lo
	v_cmp_gt_i32_e32 vcc_lo, 31, v14
	v_lshl_or_b32 v21, v19, 12, v4
	v_or_b32_e32 v18, v24, v18
	s_delay_alu instid0(VALU_DEP_4)
	v_lshl_or_b32 v8, v8, 9, 0x7c00
	s_wait_alu 0xfffd
	v_cndmask_b32_e32 v16, 0x7c00, v16, vcc_lo
	v_cmp_gt_i32_e32 vcc_lo, 1, v19
	v_and_or_b32 v6, 0x1ff, v7, v6
	v_lshrrev_b32_e32 v22, 8, v7
	s_wait_alu 0xfffd
	v_cndmask_b32_e32 v18, v21, v18, vcc_lo
	v_cmp_eq_u32_e32 vcc_lo, 0x40f, v14
	s_wait_alu 0xfffd
	s_delay_alu instid0(VALU_DEP_2)
	v_dual_cndmask_b32 v14, v16, v8 :: v_dual_and_b32 v21, 7, v18
	v_lshrrev_b32_e32 v16, 16, v9
	v_cmp_ne_u32_e32 vcc_lo, 0, v6
	v_mul_f64_e32 v[8:9], s[8:9], v[10:11]
	v_bfe_u32 v10, v7, 20, 11
	v_cmp_eq_u32_e64 s0, 3, v21
	v_and_or_b32 v11, 0x8000, v16, v14
	v_and_b32_e32 v14, 0xffff, v20
	s_wait_alu 0xfffd
	v_cndmask_b32_e64 v6, 0, 1, vcc_lo
	v_cmp_lt_i32_e32 vcc_lo, 5, v21
	v_sub_nc_u32_e32 v16, 0x3f1, v10
	v_and_or_b32 v12, 0x1ff, v13, v12
	v_lshl_or_b32 v11, v11, 16, v14
	v_lshrrev_b32_e32 v14, 2, v18
	v_and_or_b32 v6, 0xffe, v22, v6
	s_or_b32 vcc_lo, s0, vcc_lo
	v_med3_i32 v16, v16, 0, 13
	v_lshrrev_b32_e32 v21, 8, v13
	s_wait_alu 0xfffe
	v_add_co_ci_u32_e32 v14, vcc_lo, 0, v14, vcc_lo
	v_or_b32_e32 v18, 0x1000, v6
	v_cmp_ne_u32_e32 vcc_lo, 0, v4
	v_bfe_u32 v22, v13, 20, 11
	v_add_nc_u32_e32 v10, 0xfffffc10, v10
	v_lshrrev_b32_e32 v7, 16, v7
	v_lshrrev_b32_e32 v20, v16, v18
	s_wait_alu 0xfffd
	v_cndmask_b32_e64 v4, 0, 1, vcc_lo
	v_cmp_gt_i32_e32 vcc_lo, 31, v19
	s_delay_alu instid0(VALU_DEP_3) | instskip(NEXT) | instid1(VALU_DEP_3)
	v_lshlrev_b32_e32 v16, v16, v20
	v_lshl_or_b32 v4, v4, 9, 0x7c00
	s_wait_alu 0xfffd
	v_cndmask_b32_e32 v14, 0x7c00, v14, vcc_lo
	v_cmp_ne_u32_e32 vcc_lo, 0, v12
	s_wait_alu 0xfffd
	v_cndmask_b32_e64 v12, 0, 1, vcc_lo
	v_cmp_ne_u32_e32 vcc_lo, v16, v18
	v_sub_nc_u32_e32 v18, 0x3f1, v22
	v_and_or_b32 v8, 0x1ff, v9, v8
	s_delay_alu instid0(VALU_DEP_4)
	v_and_or_b32 v12, 0xffe, v21, v12
	s_wait_alu 0xfffd
	v_cndmask_b32_e64 v16, 0, 1, vcc_lo
	v_cmp_eq_u32_e32 vcc_lo, 0x40f, v19
	v_med3_i32 v18, v18, 0, 13
	v_bfe_u32 v21, v9, 20, 11
	v_or_b32_e32 v19, 0x1000, v12
	s_wait_alu 0xfffd
	v_cndmask_b32_e32 v4, v14, v4, vcc_lo
	v_or_b32_e32 v14, v20, v16
	v_lshl_or_b32 v16, v10, 12, v6
	v_cmp_gt_i32_e32 vcc_lo, 1, v10
	v_lshrrev_b32_e32 v20, 8, v9
	v_and_or_b32 v4, 0x8000, v5, v4
	v_lshrrev_b32_e32 v9, 16, v9
	s_wait_alu 0xfffd
	v_cndmask_b32_e32 v14, v16, v14, vcc_lo
	v_lshrrev_b32_e32 v16, v18, v19
	v_cmp_ne_u32_e32 vcc_lo, 0, v8
	s_delay_alu instid0(VALU_DEP_3) | instskip(NEXT) | instid1(VALU_DEP_3)
	v_and_b32_e32 v23, 7, v14
	v_lshlrev_b32_e32 v18, v18, v16
	s_wait_alu 0xfffd
	v_cndmask_b32_e64 v8, 0, 1, vcc_lo
	v_lshrrev_b32_e32 v14, 2, v14
	v_cmp_lt_i32_e32 vcc_lo, 5, v23
	v_cmp_ne_u32_e64 s0, v18, v19
	s_delay_alu instid0(VALU_DEP_4)
	v_and_or_b32 v5, 0xffe, v20, v8
	v_sub_nc_u32_e32 v8, 0x3f1, v21
	v_add_nc_u32_e32 v20, 0xfffffc10, v22
	s_wait_alu 0xf1ff
	v_cndmask_b32_e64 v18, 0, 1, s0
	v_cmp_eq_u32_e64 s0, 3, v23
	v_or_b32_e32 v19, 0x1000, v5
	v_med3_i32 v8, v8, 0, 13
	v_lshl_or_b32 v22, v20, 12, v12
	v_or_b32_e32 v16, v16, v18
	s_or_b32 vcc_lo, s0, vcc_lo
	s_wait_alu 0xfffe
	v_add_co_ci_u32_e32 v14, vcc_lo, 0, v14, vcc_lo
	v_lshrrev_b32_e32 v18, v8, v19
	v_cmp_gt_i32_e32 vcc_lo, 1, v20
	s_delay_alu instid0(VALU_DEP_2)
	v_lshlrev_b32_e32 v8, v8, v18
	s_wait_alu 0xfffd
	v_cndmask_b32_e32 v16, v22, v16, vcc_lo
	v_cmp_ne_u32_e32 vcc_lo, 0, v6
	s_wait_alu 0xfffd
	v_cndmask_b32_e64 v6, 0, 1, vcc_lo
	v_cmp_ne_u32_e32 vcc_lo, v8, v19
	v_add_nc_u32_e32 v19, 0xfffffc10, v21
	v_and_b32_e32 v21, 7, v16
	s_delay_alu instid0(VALU_DEP_4)
	v_lshl_or_b32 v6, v6, 9, 0x7c00
	s_wait_alu 0xfffd
	v_cndmask_b32_e64 v8, 0, 1, vcc_lo
	v_cmp_gt_i32_e32 vcc_lo, 31, v10
	v_cmp_gt_i32_e64 s1, 1, v19
	v_cmp_eq_u32_e64 s0, 3, v21
	s_delay_alu instid0(VALU_DEP_4)
	v_or_b32_e32 v8, v18, v8
	v_lshl_or_b32 v18, v19, 12, v5
	s_wait_alu 0xfffd
	v_cndmask_b32_e32 v14, 0x7c00, v14, vcc_lo
	v_cmp_lt_i32_e32 vcc_lo, 5, v21
	s_wait_alu 0xf1ff
	v_cndmask_b32_e64 v8, v18, v8, s1
	v_cmp_eq_u32_e64 s1, 0x40f, v10
	v_lshrrev_b32_e32 v10, 2, v16
	s_or_b32 vcc_lo, s0, vcc_lo
	s_delay_alu instid0(VALU_DEP_2) | instskip(SKIP_1) | instid1(VALU_DEP_2)
	v_cndmask_b32_e64 v6, v14, v6, s1
	s_wait_alu 0xfffe
	v_add_co_ci_u32_e32 v10, vcc_lo, 0, v10, vcc_lo
	v_and_b32_e32 v14, 7, v8
	v_cmp_ne_u32_e32 vcc_lo, 0, v12
	v_lshrrev_b32_e32 v8, 2, v8
	v_cmp_gt_i32_e64 s1, 31, v20
	v_and_or_b32 v6, 0x8000, v7, v6
	v_and_b32_e32 v7, 0xffff, v4
	s_wait_alu 0xfffd
	v_cndmask_b32_e64 v12, 0, 1, vcc_lo
	v_cmp_lt_i32_e32 vcc_lo, 5, v14
	v_cmp_eq_u32_e64 s0, 3, v14
	s_wait_alu 0xf1ff
	v_cndmask_b32_e64 v10, 0x7c00, v10, s1
	v_lshl_or_b32 v12, v12, 9, 0x7c00
	s_delay_alu instid0(VALU_DEP_3)
	s_or_b32 vcc_lo, s0, vcc_lo
	s_wait_alu 0xfffe
	v_add_co_ci_u32_e32 v8, vcc_lo, 0, v8, vcc_lo
	v_cmp_ne_u32_e32 vcc_lo, 0, v5
	s_wait_alu 0xfffd
	v_cndmask_b32_e64 v5, 0, 1, vcc_lo
	v_cmp_eq_u32_e32 vcc_lo, 0x40f, v20
	s_delay_alu instid0(VALU_DEP_2)
	v_lshl_or_b32 v5, v5, 9, 0x7c00
	s_wait_alu 0xfffd
	v_cndmask_b32_e32 v10, v10, v12, vcc_lo
	v_cmp_gt_i32_e32 vcc_lo, 31, v19
	v_lshrrev_b32_e32 v12, 16, v13
	s_wait_alu 0xfffd
	v_cndmask_b32_e32 v8, 0x7c00, v8, vcc_lo
	v_cmp_eq_u32_e32 vcc_lo, 0x40f, v19
	s_delay_alu instid0(VALU_DEP_3)
	v_and_or_b32 v10, 0x8000, v12, v10
	v_lshl_or_b32 v12, v6, 16, v7
	s_wait_alu 0xfffd
	v_cndmask_b32_e32 v8, v8, v5, vcc_lo
	v_add_co_u32 v4, vcc_lo, v0, s2
	s_wait_alu 0xfffd
	v_add_co_ci_u32_e32 v5, vcc_lo, s3, v1, vcc_lo
	s_delay_alu instid0(VALU_DEP_3) | instskip(SKIP_4) | instid1(VALU_DEP_3)
	v_and_or_b32 v8, 0x8000, v9, v8
	v_and_b32_e32 v9, 0xffff, v10
	v_add_co_u32 v6, vcc_lo, v4, s2
	s_wait_alu 0xfffd
	v_add_co_ci_u32_e32 v7, vcc_lo, s3, v5, vcc_lo
	v_lshl_or_b32 v10, v8, 16, v9
	s_delay_alu instid0(VALU_DEP_3) | instskip(SKIP_1) | instid1(VALU_DEP_3)
	v_add_co_u32 v8, vcc_lo, v6, s2
	s_wait_alu 0xfffd
	v_add_co_ci_u32_e32 v9, vcc_lo, s3, v7, vcc_lo
	global_store_b32 v[2:3], v17, off
	global_store_b32 v[0:1], v15, off
	;; [unrolled: 1-line block ×5, first 2 shown]
.LBB0_10:
	s_nop 0
	s_sendmsg sendmsg(MSG_DEALLOC_VGPRS)
	s_endpgm
	.section	.rodata,"a",@progbits
	.p2align	6, 0x0
	.amdhsa_kernel bluestein_single_fwd_len208_dim1_half_op_CI_CI
		.amdhsa_group_segment_fixed_size 3328
		.amdhsa_private_segment_fixed_size 0
		.amdhsa_kernarg_size 104
		.amdhsa_user_sgpr_count 2
		.amdhsa_user_sgpr_dispatch_ptr 0
		.amdhsa_user_sgpr_queue_ptr 0
		.amdhsa_user_sgpr_kernarg_segment_ptr 1
		.amdhsa_user_sgpr_dispatch_id 0
		.amdhsa_user_sgpr_private_segment_size 0
		.amdhsa_wavefront_size32 1
		.amdhsa_uses_dynamic_stack 0
		.amdhsa_enable_private_segment 0
		.amdhsa_system_sgpr_workgroup_id_x 1
		.amdhsa_system_sgpr_workgroup_id_y 0
		.amdhsa_system_sgpr_workgroup_id_z 0
		.amdhsa_system_sgpr_workgroup_info 0
		.amdhsa_system_vgpr_workitem_id 0
		.amdhsa_next_free_vgpr 207
		.amdhsa_next_free_sgpr 20
		.amdhsa_reserve_vcc 1
		.amdhsa_float_round_mode_32 0
		.amdhsa_float_round_mode_16_64 0
		.amdhsa_float_denorm_mode_32 3
		.amdhsa_float_denorm_mode_16_64 3
		.amdhsa_fp16_overflow 0
		.amdhsa_workgroup_processor_mode 1
		.amdhsa_memory_ordered 1
		.amdhsa_forward_progress 0
		.amdhsa_round_robin_scheduling 0
		.amdhsa_exception_fp_ieee_invalid_op 0
		.amdhsa_exception_fp_denorm_src 0
		.amdhsa_exception_fp_ieee_div_zero 0
		.amdhsa_exception_fp_ieee_overflow 0
		.amdhsa_exception_fp_ieee_underflow 0
		.amdhsa_exception_fp_ieee_inexact 0
		.amdhsa_exception_int_div_zero 0
	.end_amdhsa_kernel
	.text
.Lfunc_end0:
	.size	bluestein_single_fwd_len208_dim1_half_op_CI_CI, .Lfunc_end0-bluestein_single_fwd_len208_dim1_half_op_CI_CI
                                        ; -- End function
	.section	.AMDGPU.csdata,"",@progbits
; Kernel info:
; codeLenInByte = 21356
; NumSgprs: 22
; NumVgprs: 207
; ScratchSize: 0
; MemoryBound: 0
; FloatMode: 240
; IeeeMode: 1
; LDSByteSize: 3328 bytes/workgroup (compile time only)
; SGPRBlocks: 2
; VGPRBlocks: 25
; NumSGPRsForWavesPerEU: 22
; NumVGPRsForWavesPerEU: 207
; Occupancy: 7
; WaveLimiterHint : 1
; COMPUTE_PGM_RSRC2:SCRATCH_EN: 0
; COMPUTE_PGM_RSRC2:USER_SGPR: 2
; COMPUTE_PGM_RSRC2:TRAP_HANDLER: 0
; COMPUTE_PGM_RSRC2:TGID_X_EN: 1
; COMPUTE_PGM_RSRC2:TGID_Y_EN: 0
; COMPUTE_PGM_RSRC2:TGID_Z_EN: 0
; COMPUTE_PGM_RSRC2:TIDIG_COMP_CNT: 0
	.text
	.p2alignl 7, 3214868480
	.fill 96, 4, 3214868480
	.type	__hip_cuid_402599d374212423,@object ; @__hip_cuid_402599d374212423
	.section	.bss,"aw",@nobits
	.globl	__hip_cuid_402599d374212423
__hip_cuid_402599d374212423:
	.byte	0                               ; 0x0
	.size	__hip_cuid_402599d374212423, 1

	.ident	"AMD clang version 19.0.0git (https://github.com/RadeonOpenCompute/llvm-project roc-6.4.0 25133 c7fe45cf4b819c5991fe208aaa96edf142730f1d)"
	.section	".note.GNU-stack","",@progbits
	.addrsig
	.addrsig_sym __hip_cuid_402599d374212423
	.amdgpu_metadata
---
amdhsa.kernels:
  - .args:
      - .actual_access:  read_only
        .address_space:  global
        .offset:         0
        .size:           8
        .value_kind:     global_buffer
      - .actual_access:  read_only
        .address_space:  global
        .offset:         8
        .size:           8
        .value_kind:     global_buffer
      - .actual_access:  read_only
        .address_space:  global
        .offset:         16
        .size:           8
        .value_kind:     global_buffer
      - .actual_access:  read_only
        .address_space:  global
        .offset:         24
        .size:           8
        .value_kind:     global_buffer
      - .actual_access:  read_only
        .address_space:  global
        .offset:         32
        .size:           8
        .value_kind:     global_buffer
      - .offset:         40
        .size:           8
        .value_kind:     by_value
      - .address_space:  global
        .offset:         48
        .size:           8
        .value_kind:     global_buffer
      - .address_space:  global
        .offset:         56
        .size:           8
        .value_kind:     global_buffer
      - .address_space:  global
        .offset:         64
        .size:           8
        .value_kind:     global_buffer
      - .address_space:  global
        .offset:         72
        .size:           8
        .value_kind:     global_buffer
      - .offset:         80
        .size:           4
        .value_kind:     by_value
      - .address_space:  global
        .offset:         88
        .size:           8
        .value_kind:     global_buffer
      - .address_space:  global
        .offset:         96
        .size:           8
        .value_kind:     global_buffer
    .group_segment_fixed_size: 3328
    .kernarg_segment_align: 8
    .kernarg_segment_size: 104
    .language:       OpenCL C
    .language_version:
      - 2
      - 0
    .max_flat_workgroup_size: 64
    .name:           bluestein_single_fwd_len208_dim1_half_op_CI_CI
    .private_segment_fixed_size: 0
    .sgpr_count:     22
    .sgpr_spill_count: 0
    .symbol:         bluestein_single_fwd_len208_dim1_half_op_CI_CI.kd
    .uniform_work_group_size: 1
    .uses_dynamic_stack: false
    .vgpr_count:     207
    .vgpr_spill_count: 0
    .wavefront_size: 32
    .workgroup_processor_mode: 1
amdhsa.target:   amdgcn-amd-amdhsa--gfx1201
amdhsa.version:
  - 1
  - 2
...

	.end_amdgpu_metadata
